;; amdgpu-corpus repo=ROCm/rocSPARSE kind=compiled arch=gfx1250 opt=O3
	.amdgcn_target "amdgcn-amd-amdhsa--gfx1250"
	.amdhsa_code_object_version 6
	.section	.text._ZN9rocsparseL17csrilu0_binsearchILj256ELj64ELb1EfEEviPKiS2_PT2_S2_PiS2_S5_S5_d21rocsparse_index_base_imNS_24const_host_device_scalarIfEENS7_IdEENS7_IS3_EEb,"axG",@progbits,_ZN9rocsparseL17csrilu0_binsearchILj256ELj64ELb1EfEEviPKiS2_PT2_S2_PiS2_S5_S5_d21rocsparse_index_base_imNS_24const_host_device_scalarIfEENS7_IdEENS7_IS3_EEb,comdat
	.globl	_ZN9rocsparseL17csrilu0_binsearchILj256ELj64ELb1EfEEviPKiS2_PT2_S2_PiS2_S5_S5_d21rocsparse_index_base_imNS_24const_host_device_scalarIfEENS7_IdEENS7_IS3_EEb ; -- Begin function _ZN9rocsparseL17csrilu0_binsearchILj256ELj64ELb1EfEEviPKiS2_PT2_S2_PiS2_S5_S5_d21rocsparse_index_base_imNS_24const_host_device_scalarIfEENS7_IdEENS7_IS3_EEb
	.p2align	8
	.type	_ZN9rocsparseL17csrilu0_binsearchILj256ELj64ELb1EfEEviPKiS2_PT2_S2_PiS2_S5_S5_d21rocsparse_index_base_imNS_24const_host_device_scalarIfEENS7_IdEENS7_IS3_EEb,@function
_ZN9rocsparseL17csrilu0_binsearchILj256ELj64ELb1EfEEviPKiS2_PT2_S2_PiS2_S5_S5_d21rocsparse_index_base_imNS_24const_host_device_scalarIfEENS7_IdEENS7_IS3_EEb: ; @_ZN9rocsparseL17csrilu0_binsearchILj256ELj64ELb1EfEEviPKiS2_PT2_S2_PiS2_S5_S5_d21rocsparse_index_base_imNS_24const_host_device_scalarIfEENS7_IdEENS7_IS3_EEb
; %bb.0:
	s_clause 0x2
	s_load_b32 s2, s[0:1], 0x78
	s_load_b64 s[28:29], s[0:1], 0x50
	s_load_b256 s[20:27], s[0:1], 0x58
	s_wait_kmcnt 0x0
	s_bitcmp1_b32 s2, 0
	s_cselect_b32 s2, -1, 0
	s_cmp_eq_u32 s29, 0
	s_cselect_b32 s4, -1, 0
	s_cmp_lg_u32 s29, 0
	s_cselect_b32 s29, -1, 0
	s_or_b32 s6, s4, s2
	s_delay_alu instid0(SALU_CYCLE_1)
	s_xor_b32 s5, s6, -1
	s_and_b32 s2, s4, exec_lo
	s_cselect_b32 s3, 0, s25
	s_cselect_b32 s2, 0, s24
	;; [unrolled: 1-line block ×3, first 2 shown]
	s_and_b32 vcc_lo, exec_lo, s6
	s_cbranch_vccnz .LBB0_2
; %bb.1:
	s_load_b32 s30, s[22:23], 0x0
	s_mov_b64 s[2:3], s[24:25]
.LBB0_2:
	s_delay_alu instid0(SALU_CYCLE_1)
	v_mov_b64_e32 v[4:5], s[2:3]
	v_cndmask_b32_e64 v1, 0, 1, s5
	s_and_not1_b32 vcc_lo, exec_lo, s5
	s_cbranch_vccnz .LBB0_4
; %bb.3:
	v_mov_b32_e32 v2, 0
	flat_load_b64 v[4:5], v2, s[24:25]
.LBB0_4:
	s_delay_alu instid0(VALU_DEP_1)
	v_cmp_ne_u32_e32 vcc_lo, 1, v1
	s_and_b32 s2, s4, exec_lo
	s_cselect_b32 s3, 0, s26
	s_cbranch_vccnz .LBB0_6
; %bb.5:
	s_load_b32 s3, s[26:27], 0x0
.LBB0_6:
	s_load_b32 s2, s[0:1], 0x0
	s_bfe_u32 s4, ttmp6, 0x4000c
	s_and_b32 s5, ttmp6, 15
	s_add_co_i32 s4, s4, 1
	s_getreg_b32 s6, hwreg(HW_REG_IB_STS2, 6, 4)
	s_mul_i32 s4, ttmp9, s4
	v_lshrrev_b32_e32 v1, 6, v0
	s_add_co_i32 s5, s5, s4
	s_cmp_eq_u32 s6, 0
	s_cselect_b32 s4, ttmp9, s5
	s_delay_alu instid0(SALU_CYCLE_1) | instskip(NEXT) | instid1(SALU_CYCLE_1)
	s_lshl_b32 s4, s4, 2
	v_and_or_b32 v1, 0x3fffffc, s4, v1
	s_wait_kmcnt 0x0
	s_delay_alu instid0(VALU_DEP_1)
	v_cmp_gt_i32_e32 vcc_lo, s2, v1
	s_and_saveexec_b32 s2, vcc_lo
	s_cbranch_execz .LBB0_44
; %bb.7:
	s_load_b512 s[4:19], s[0:1], 0x8
	s_mov_b32 s2, exec_lo
	s_wait_kmcnt 0x0
	global_load_b32 v2, v1, s[14:15] scale_offset
	v_and_b32_e32 v12, 63, v0
	s_wait_loadcnt 0x0
	s_clause 0x1
	global_load_b32 v1, v2, s[4:5] scale_offset
	global_load_b32 v6, v2, s[10:11] scale_offset
	v_ashrrev_i32_e32 v3, 31, v2
	s_wait_loadcnt 0x1
	v_subrev_nc_u32_e32 v8, s28, v1
	s_wait_loadcnt 0x0
	s_delay_alu instid0(VALU_DEP_1)
	v_cmpx_lt_i32_e64 v8, v6
	s_cbranch_execz .LBB0_26
; %bb.8:
	v_lshl_add_u64 v[0:1], v[2:3], 2, s[4:5]
	v_add_nc_u32_e32 v7, 1, v12
	s_mov_b32 s14, 0
	global_load_b32 v0, v[0:1], off offset:4
	s_wait_loadcnt 0x0
	v_xad_u32 v13, s28, -1, v0
	s_branch .LBB0_11
.LBB0_9:                                ;   in Loop: Header=BB0_11 Depth=1
	s_or_b32 exec_lo, exec_lo, s22
	v_cmp_ge_i32_e32 vcc_lo, v8, v6
	s_or_not1_b32 s22, vcc_lo, exec_lo
.LBB0_10:                               ;   in Loop: Header=BB0_11 Depth=1
	s_or_b32 exec_lo, exec_lo, s15
	s_delay_alu instid0(SALU_CYCLE_1) | instskip(NEXT) | instid1(SALU_CYCLE_1)
	s_and_b32 s15, exec_lo, s22
	s_or_b32 s14, s15, s14
	s_delay_alu instid0(SALU_CYCLE_1)
	s_and_not1_b32 exec_lo, exec_lo, s14
	s_cbranch_execz .LBB0_26
.LBB0_11:                               ; =>This Loop Header: Depth=1
                                        ;     Child Loop BB0_14 Depth 2
                                        ;       Child Loop BB0_15 Depth 3
                                        ;     Child Loop BB0_20 Depth 2
                                        ;       Child Loop BB0_22 Depth 3
	s_clause 0x1
	global_load_b32 v0, v8, s[6:7] scale_offset
	global_load_b32 v14, v8, s[8:9] scale_offset
	s_mov_b32 s15, exec_lo
	s_wait_loadcnt 0x1
	v_subrev_nc_u32_e32 v0, s28, v0
	s_clause 0x2
	global_load_b32 v16, v0, s[4:5] offset:4 scale_offset
	global_load_b32 v15, v0, s[10:11] scale_offset
	global_load_b32 v1, v0, s[12:13] scale_offset scope:SCOPE_DEV
	s_wait_loadcnt 0x0
	s_wait_xcnt 0x0
	v_cmpx_eq_u32_e32 0, v1
	s_cbranch_execz .LBB0_16
; %bb.12:                               ;   in Loop: Header=BB0_11 Depth=1
	v_ashrrev_i32_e32 v1, 31, v0
	s_mov_b32 s22, 0
	s_mov_b32 s23, 0
	s_delay_alu instid0(VALU_DEP_1)
	v_lshl_add_u64 v[0:1], v[0:1], 2, s[12:13]
	s_branch .LBB0_14
.LBB0_13:                               ;   in Loop: Header=BB0_14 Depth=2
	global_load_b32 v9, v[0:1], off scope:SCOPE_DEV
	s_cmp_lt_u32 s23, 0xf43
	s_cselect_b32 s24, -1, 0
	s_delay_alu instid0(SALU_CYCLE_1)
	s_cmp_lg_u32 s24, 0
	s_add_co_ci_u32 s23, s23, 0
	s_wait_loadcnt 0x0
	v_cmp_ne_u32_e32 vcc_lo, 0, v9
	s_or_b32 s22, vcc_lo, s22
	s_wait_xcnt 0x0
	s_and_not1_b32 exec_lo, exec_lo, s22
	s_cbranch_execz .LBB0_16
.LBB0_14:                               ;   Parent Loop BB0_11 Depth=1
                                        ; =>  This Loop Header: Depth=2
                                        ;       Child Loop BB0_15 Depth 3
	s_cmp_eq_u32 s23, 0
	s_mov_b32 s24, s23
	s_cbranch_scc1 .LBB0_13
.LBB0_15:                               ;   Parent Loop BB0_11 Depth=1
                                        ;     Parent Loop BB0_14 Depth=2
                                        ; =>    This Inner Loop Header: Depth=3
	s_add_co_i32 s24, s24, -1
	s_sleep 1
	s_cmp_eq_u32 s24, 0
	s_cbranch_scc0 .LBB0_15
	s_branch .LBB0_13
.LBB0_16:                               ;   in Loop: Header=BB0_11 Depth=1
	s_or_b32 exec_lo, exec_lo, s15
	v_ashrrev_i32_e32 v9, 31, v8
	v_cmp_eq_u32_e32 vcc_lo, -1, v15
	s_wait_dscnt 0x0
	global_inv scope:SCOPE_DEV
	s_mov_b32 s22, -1
	s_mov_b32 s15, exec_lo
	v_lshl_add_u64 v[10:11], v[8:9], 2, s[8:9]
	v_subrev_nc_u32_e32 v9, s28, v16
	s_delay_alu instid0(VALU_DEP_1) | instskip(NEXT) | instid1(VALU_DEP_1)
	v_add_nc_u32_e32 v0, -1, v9
	v_cndmask_b32_e32 v0, v15, v0, vcc_lo
	global_load_b32 v1, v0, s[8:9] scale_offset
	s_wait_loadcnt 0x0
	s_wait_xcnt 0x0
	v_cmpx_neq_f32_e32 0, v1
	s_xor_b32 s15, exec_lo, s15
	s_cbranch_execz .LBB0_10
; %bb.17:                               ;   in Loop: Header=BB0_11 Depth=1
	v_div_scale_f32 v15, null, v1, v1, v14
	v_div_scale_f32 v18, vcc_lo, v14, v1, v14
	v_add_nc_u32_e32 v0, v7, v0
	s_delay_alu instid0(VALU_DEP_3) | instskip(SKIP_2) | instid1(TRANS32_DEP_1)
	v_rcp_f32_e32 v16, v15
	s_mov_b32 s22, exec_lo
	v_add_nc_u32_e32 v8, 1, v8
	v_fma_f32 v17, -v15, v16, 1.0
	s_delay_alu instid0(VALU_DEP_1) | instskip(NEXT) | instid1(VALU_DEP_1)
	v_fmac_f32_e32 v16, v17, v16
	v_mul_f32_e32 v17, v18, v16
	s_delay_alu instid0(VALU_DEP_1) | instskip(NEXT) | instid1(VALU_DEP_1)
	v_fma_f32 v19, -v15, v17, v18
	v_fmac_f32_e32 v17, v19, v16
	s_delay_alu instid0(VALU_DEP_1) | instskip(NEXT) | instid1(VALU_DEP_1)
	v_fma_f32 v15, -v15, v17, v18
	v_div_fmas_f32 v15, v15, v16, v17
	s_delay_alu instid0(VALU_DEP_1)
	v_div_fixup_f32 v14, v15, v1, v14
	global_store_b32 v[10:11], v14, off
	s_wait_xcnt 0x0
	v_cmpx_lt_i32_e64 v0, v9
	s_cbranch_execz .LBB0_9
; %bb.18:                               ;   in Loop: Header=BB0_11 Depth=1
	v_mov_b32_e32 v10, v8
	s_mov_b32 s23, 0
	s_branch .LBB0_20
.LBB0_19:                               ;   in Loop: Header=BB0_20 Depth=2
	s_wait_xcnt 0x0
	s_or_b32 exec_lo, exec_lo, s24
	v_add_nc_u32_e32 v0, 64, v0
	s_delay_alu instid0(VALU_DEP_1) | instskip(SKIP_1) | instid1(SALU_CYCLE_1)
	v_cmp_ge_i32_e32 vcc_lo, v0, v9
	s_or_b32 s23, vcc_lo, s23
	s_and_not1_b32 exec_lo, exec_lo, s23
	s_cbranch_execz .LBB0_9
.LBB0_20:                               ;   Parent Loop BB0_11 Depth=1
                                        ; =>  This Loop Header: Depth=2
                                        ;       Child Loop BB0_22 Depth 3
	s_delay_alu instid0(VALU_DEP_1) | instskip(SKIP_1) | instid1(VALU_DEP_1)
	v_add_nc_u32_e32 v1, v10, v13
	s_mov_b32 s24, exec_lo
	v_ashrrev_i32_e32 v1, 1, v1
	s_clause 0x1
	global_load_b32 v11, v0, s[6:7] scale_offset
	global_load_b32 v15, v1, s[6:7] scale_offset
	s_wait_xcnt 0x0
	v_cmpx_lt_i32_e64 v10, v13
	s_cbranch_execz .LBB0_24
; %bb.21:                               ;   in Loop: Header=BB0_20 Depth=2
	v_mov_b32_e32 v16, v13
	s_mov_b32 s25, 0
.LBB0_22:                               ;   Parent Loop BB0_11 Depth=1
                                        ;     Parent Loop BB0_20 Depth=2
                                        ; =>    This Inner Loop Header: Depth=3
	s_wait_loadcnt 0x0
	v_cmp_lt_i32_e32 vcc_lo, v15, v11
	s_delay_alu instid0(VALU_DEP_2) | instskip(NEXT) | instid1(VALU_DEP_1)
	v_dual_cndmask_b32 v16, v1, v16 :: v_dual_add_nc_u32 v17, 1, v1
	v_cndmask_b32_e32 v10, v10, v17, vcc_lo
	s_delay_alu instid0(VALU_DEP_1) | instskip(SKIP_1) | instid1(VALU_DEP_2)
	v_add_nc_u32_e32 v1, v16, v10
	v_cmp_ge_i32_e32 vcc_lo, v10, v16
	v_ashrrev_i32_e32 v1, 1, v1
	s_or_b32 s25, vcc_lo, s25
	global_load_b32 v15, v1, s[6:7] scale_offset
	s_wait_xcnt 0x0
	s_and_not1_b32 exec_lo, exec_lo, s25
	s_cbranch_execnz .LBB0_22
; %bb.23:                               ;   in Loop: Header=BB0_20 Depth=2
	s_or_b32 exec_lo, exec_lo, s25
.LBB0_24:                               ;   in Loop: Header=BB0_20 Depth=2
	s_delay_alu instid0(SALU_CYCLE_1)
	s_or_b32 exec_lo, exec_lo, s24
	v_ashrrev_i32_e32 v1, 31, v0
	s_mov_b32 s24, exec_lo
	s_wait_loadcnt 0x0
	v_cmpx_eq_u32_e64 v15, v11
	s_cbranch_execz .LBB0_19
; %bb.25:                               ;   in Loop: Header=BB0_20 Depth=2
	v_lshl_add_u64 v[16:17], v[0:1], 2, s[8:9]
	s_clause 0x1
	global_load_b32 v1, v[16:17], off
	global_load_b32 v11, v10, s[8:9] scale_offset
	s_wait_loadcnt 0x0
	v_fma_f32 v1, -v14, v1, v11
	global_store_b32 v10, v1, s[8:9] scale_offset
	s_branch .LBB0_19
.LBB0_26:
	s_or_b32 exec_lo, exec_lo, s2
	s_mov_b32 s5, -1
	s_mov_b32 s4, exec_lo
	s_wait_storecnt_dscnt 0x0
	v_cmpx_lt_i32_e32 -1, v6
	s_cbranch_execz .LBB0_42
; %bb.27:
	global_load_b32 v8, v6, s[8:9] scale_offset
	v_cmp_eq_u32_e64 s2, 0, v12
	s_wait_loadcnt 0x0
	v_cmp_gt_f32_e32 vcc_lo, 0, v8
	v_cndmask_b32_e64 v0, v8, -v8, vcc_lo
	s_and_not1_b32 vcc_lo, exec_lo, s29
	s_delay_alu instid0(VALU_DEP_1)
	v_cvt_f64_f32_e32 v[0:1], v0
	s_cbranch_vccnz .LBB0_31
; %bb.28:
	v_cvt_f64_f32_e32 v[10:11], s30
	s_cmp_eq_u64 s[20:21], 8
	s_cselect_b32 vcc_lo, -1, 0
	s_delay_alu instid0(VALU_DEP_1) | instskip(NEXT) | instid1(VALU_DEP_1)
	v_dual_cndmask_b32 v5, v11, v5 :: v_dual_cndmask_b32 v4, v10, v4
	v_cmp_ge_f64_e32 vcc_lo, v[4:5], v[0:1]
	s_and_b32 s6, s2, vcc_lo
	s_delay_alu instid0(SALU_CYCLE_1)
	s_and_saveexec_b32 s5, s6
	s_cbranch_execz .LBB0_30
; %bb.29:
	v_mov_b32_e32 v7, 0
	s_delay_alu instid0(VALU_DEP_1)
	v_lshl_add_u64 v[4:5], v[6:7], 2, s[8:9]
	v_mov_b32_e32 v6, s3
	global_store_b32 v[4:5], v6, off
.LBB0_30:
	s_wait_xcnt 0x0
	s_or_b32 exec_lo, exec_lo, s5
	s_mov_b32 s5, 0
.LBB0_31:
	s_delay_alu instid0(SALU_CYCLE_1)
	s_and_not1_b32 vcc_lo, exec_lo, s5
	s_cbranch_vccnz .LBB0_42
; %bb.32:
	s_load_b64 s[0:1], s[0:1], 0x48
	s_wait_kmcnt 0x0
	s_delay_alu instid0(VALU_DEP_1) | instskip(SKIP_2) | instid1(SALU_CYCLE_1)
	v_cmp_ge_f64_e32 vcc_lo, s[0:1], v[0:1]
	v_add_nc_u32_e32 v0, s28, v2
	s_and_b32 s1, s2, vcc_lo
	s_and_saveexec_b32 s0, s1
	s_cbranch_execz .LBB0_37
; %bb.33:
	s_mov_b32 s3, exec_lo
	s_brev_b32 s1, -2
.LBB0_34:                               ; =>This Inner Loop Header: Depth=1
	s_ctz_i32_b32 s5, s3
	s_delay_alu instid0(SALU_CYCLE_1) | instskip(SKIP_1) | instid1(SALU_CYCLE_1)
	v_readlane_b32 s6, v0, s5
	s_lshl_b32 s5, 1, s5
	s_and_not1_b32 s3, s3, s5
	s_min_i32 s1, s1, s6
	s_cmp_lg_u32 s3, 0
	s_cbranch_scc1 .LBB0_34
; %bb.35:
	v_mbcnt_lo_u32_b32 v1, exec_lo, 0
	s_mov_b32 s3, exec_lo
	s_delay_alu instid0(VALU_DEP_1)
	v_cmpx_eq_u32_e32 0, v1
	s_xor_b32 s3, exec_lo, s3
	s_cbranch_execz .LBB0_37
; %bb.36:
	v_dual_mov_b32 v1, 0 :: v_dual_mov_b32 v4, s1
	global_atomic_min_i32 v1, v4, s[18:19] scope:SCOPE_DEV
.LBB0_37:
	s_wait_xcnt 0x0
	s_or_b32 exec_lo, exec_lo, s0
	v_cmp_eq_f32_e32 vcc_lo, 0, v8
	s_and_b32 s0, s2, vcc_lo
	s_delay_alu instid0(SALU_CYCLE_1)
	s_and_b32 exec_lo, exec_lo, s0
	s_cbranch_execz .LBB0_42
; %bb.38:
	s_mov_b32 s1, exec_lo
	s_brev_b32 s0, -2
.LBB0_39:                               ; =>This Inner Loop Header: Depth=1
	s_ctz_i32_b32 s2, s1
	s_delay_alu instid0(SALU_CYCLE_1) | instskip(SKIP_1) | instid1(SALU_CYCLE_1)
	v_readlane_b32 s3, v0, s2
	s_lshl_b32 s2, 1, s2
	s_and_not1_b32 s1, s1, s2
	s_min_i32 s0, s0, s3
	s_cmp_lg_u32 s1, 0
	s_cbranch_scc1 .LBB0_39
; %bb.40:
	v_mbcnt_lo_u32_b32 v0, exec_lo, 0
	s_mov_b32 s1, exec_lo
	s_delay_alu instid0(VALU_DEP_1)
	v_cmpx_eq_u32_e32 0, v0
	s_xor_b32 s1, exec_lo, s1
	s_cbranch_execz .LBB0_42
; %bb.41:
	v_dual_mov_b32 v0, 0 :: v_dual_mov_b32 v1, s0
	global_atomic_min_i32 v0, v1, s[16:17] scope:SCOPE_DEV
.LBB0_42:
	s_wait_xcnt 0x0
	s_or_b32 exec_lo, exec_lo, s4
	v_cmp_eq_u32_e32 vcc_lo, 0, v12
	global_wb scope:SCOPE_DEV
	s_wait_storecnt 0x0
	global_inv scope:SCOPE_DEV
	s_and_b32 exec_lo, exec_lo, vcc_lo
	s_cbranch_execz .LBB0_44
; %bb.43:
	v_lshl_add_u64 v[0:1], v[2:3], 2, s[12:13]
	v_mov_b32_e32 v2, 1
	global_wb scope:SCOPE_DEV
	s_wait_loadcnt 0x0
	s_wait_storecnt 0x0
	global_store_b32 v[0:1], v2, off scope:SCOPE_DEV
.LBB0_44:
	s_endpgm
	.section	.rodata,"a",@progbits
	.p2align	6, 0x0
	.amdhsa_kernel _ZN9rocsparseL17csrilu0_binsearchILj256ELj64ELb1EfEEviPKiS2_PT2_S2_PiS2_S5_S5_d21rocsparse_index_base_imNS_24const_host_device_scalarIfEENS7_IdEENS7_IS3_EEb
		.amdhsa_group_segment_fixed_size 0
		.amdhsa_private_segment_fixed_size 0
		.amdhsa_kernarg_size 124
		.amdhsa_user_sgpr_count 2
		.amdhsa_user_sgpr_dispatch_ptr 0
		.amdhsa_user_sgpr_queue_ptr 0
		.amdhsa_user_sgpr_kernarg_segment_ptr 1
		.amdhsa_user_sgpr_dispatch_id 0
		.amdhsa_user_sgpr_kernarg_preload_length 0
		.amdhsa_user_sgpr_kernarg_preload_offset 0
		.amdhsa_user_sgpr_private_segment_size 0
		.amdhsa_wavefront_size32 1
		.amdhsa_uses_dynamic_stack 0
		.amdhsa_enable_private_segment 0
		.amdhsa_system_sgpr_workgroup_id_x 1
		.amdhsa_system_sgpr_workgroup_id_y 0
		.amdhsa_system_sgpr_workgroup_id_z 0
		.amdhsa_system_sgpr_workgroup_info 0
		.amdhsa_system_vgpr_workitem_id 0
		.amdhsa_next_free_vgpr 20
		.amdhsa_next_free_sgpr 31
		.amdhsa_named_barrier_count 0
		.amdhsa_reserve_vcc 1
		.amdhsa_float_round_mode_32 0
		.amdhsa_float_round_mode_16_64 0
		.amdhsa_float_denorm_mode_32 3
		.amdhsa_float_denorm_mode_16_64 3
		.amdhsa_fp16_overflow 0
		.amdhsa_memory_ordered 1
		.amdhsa_forward_progress 1
		.amdhsa_inst_pref_size 14
		.amdhsa_round_robin_scheduling 0
		.amdhsa_exception_fp_ieee_invalid_op 0
		.amdhsa_exception_fp_denorm_src 0
		.amdhsa_exception_fp_ieee_div_zero 0
		.amdhsa_exception_fp_ieee_overflow 0
		.amdhsa_exception_fp_ieee_underflow 0
		.amdhsa_exception_fp_ieee_inexact 0
		.amdhsa_exception_int_div_zero 0
	.end_amdhsa_kernel
	.section	.text._ZN9rocsparseL17csrilu0_binsearchILj256ELj64ELb1EfEEviPKiS2_PT2_S2_PiS2_S5_S5_d21rocsparse_index_base_imNS_24const_host_device_scalarIfEENS7_IdEENS7_IS3_EEb,"axG",@progbits,_ZN9rocsparseL17csrilu0_binsearchILj256ELj64ELb1EfEEviPKiS2_PT2_S2_PiS2_S5_S5_d21rocsparse_index_base_imNS_24const_host_device_scalarIfEENS7_IdEENS7_IS3_EEb,comdat
.Lfunc_end0:
	.size	_ZN9rocsparseL17csrilu0_binsearchILj256ELj64ELb1EfEEviPKiS2_PT2_S2_PiS2_S5_S5_d21rocsparse_index_base_imNS_24const_host_device_scalarIfEENS7_IdEENS7_IS3_EEb, .Lfunc_end0-_ZN9rocsparseL17csrilu0_binsearchILj256ELj64ELb1EfEEviPKiS2_PT2_S2_PiS2_S5_S5_d21rocsparse_index_base_imNS_24const_host_device_scalarIfEENS7_IdEENS7_IS3_EEb
                                        ; -- End function
	.set _ZN9rocsparseL17csrilu0_binsearchILj256ELj64ELb1EfEEviPKiS2_PT2_S2_PiS2_S5_S5_d21rocsparse_index_base_imNS_24const_host_device_scalarIfEENS7_IdEENS7_IS3_EEb.num_vgpr, 20
	.set _ZN9rocsparseL17csrilu0_binsearchILj256ELj64ELb1EfEEviPKiS2_PT2_S2_PiS2_S5_S5_d21rocsparse_index_base_imNS_24const_host_device_scalarIfEENS7_IdEENS7_IS3_EEb.num_agpr, 0
	.set _ZN9rocsparseL17csrilu0_binsearchILj256ELj64ELb1EfEEviPKiS2_PT2_S2_PiS2_S5_S5_d21rocsparse_index_base_imNS_24const_host_device_scalarIfEENS7_IdEENS7_IS3_EEb.numbered_sgpr, 31
	.set _ZN9rocsparseL17csrilu0_binsearchILj256ELj64ELb1EfEEviPKiS2_PT2_S2_PiS2_S5_S5_d21rocsparse_index_base_imNS_24const_host_device_scalarIfEENS7_IdEENS7_IS3_EEb.num_named_barrier, 0
	.set _ZN9rocsparseL17csrilu0_binsearchILj256ELj64ELb1EfEEviPKiS2_PT2_S2_PiS2_S5_S5_d21rocsparse_index_base_imNS_24const_host_device_scalarIfEENS7_IdEENS7_IS3_EEb.private_seg_size, 0
	.set _ZN9rocsparseL17csrilu0_binsearchILj256ELj64ELb1EfEEviPKiS2_PT2_S2_PiS2_S5_S5_d21rocsparse_index_base_imNS_24const_host_device_scalarIfEENS7_IdEENS7_IS3_EEb.uses_vcc, 1
	.set _ZN9rocsparseL17csrilu0_binsearchILj256ELj64ELb1EfEEviPKiS2_PT2_S2_PiS2_S5_S5_d21rocsparse_index_base_imNS_24const_host_device_scalarIfEENS7_IdEENS7_IS3_EEb.uses_flat_scratch, 0
	.set _ZN9rocsparseL17csrilu0_binsearchILj256ELj64ELb1EfEEviPKiS2_PT2_S2_PiS2_S5_S5_d21rocsparse_index_base_imNS_24const_host_device_scalarIfEENS7_IdEENS7_IS3_EEb.has_dyn_sized_stack, 0
	.set _ZN9rocsparseL17csrilu0_binsearchILj256ELj64ELb1EfEEviPKiS2_PT2_S2_PiS2_S5_S5_d21rocsparse_index_base_imNS_24const_host_device_scalarIfEENS7_IdEENS7_IS3_EEb.has_recursion, 0
	.set _ZN9rocsparseL17csrilu0_binsearchILj256ELj64ELb1EfEEviPKiS2_PT2_S2_PiS2_S5_S5_d21rocsparse_index_base_imNS_24const_host_device_scalarIfEENS7_IdEENS7_IS3_EEb.has_indirect_call, 0
	.section	.AMDGPU.csdata,"",@progbits
; Kernel info:
; codeLenInByte = 1680
; TotalNumSgprs: 33
; NumVgprs: 20
; ScratchSize: 0
; MemoryBound: 0
; FloatMode: 240
; IeeeMode: 1
; LDSByteSize: 0 bytes/workgroup (compile time only)
; SGPRBlocks: 0
; VGPRBlocks: 1
; NumSGPRsForWavesPerEU: 33
; NumVGPRsForWavesPerEU: 20
; NamedBarCnt: 0
; Occupancy: 16
; WaveLimiterHint : 1
; COMPUTE_PGM_RSRC2:SCRATCH_EN: 0
; COMPUTE_PGM_RSRC2:USER_SGPR: 2
; COMPUTE_PGM_RSRC2:TRAP_HANDLER: 0
; COMPUTE_PGM_RSRC2:TGID_X_EN: 1
; COMPUTE_PGM_RSRC2:TGID_Y_EN: 0
; COMPUTE_PGM_RSRC2:TGID_Z_EN: 0
; COMPUTE_PGM_RSRC2:TIDIG_COMP_CNT: 0
	.section	.text._ZN9rocsparseL12csrilu0_hashILj256ELj32ELj1EfEEviPKiS2_PT2_S2_PiS2_S5_S5_d21rocsparse_index_base_imNS_24const_host_device_scalarIfEENS7_IdEENS7_IS3_EEb,"axG",@progbits,_ZN9rocsparseL12csrilu0_hashILj256ELj32ELj1EfEEviPKiS2_PT2_S2_PiS2_S5_S5_d21rocsparse_index_base_imNS_24const_host_device_scalarIfEENS7_IdEENS7_IS3_EEb,comdat
	.globl	_ZN9rocsparseL12csrilu0_hashILj256ELj32ELj1EfEEviPKiS2_PT2_S2_PiS2_S5_S5_d21rocsparse_index_base_imNS_24const_host_device_scalarIfEENS7_IdEENS7_IS3_EEb ; -- Begin function _ZN9rocsparseL12csrilu0_hashILj256ELj32ELj1EfEEviPKiS2_PT2_S2_PiS2_S5_S5_d21rocsparse_index_base_imNS_24const_host_device_scalarIfEENS7_IdEENS7_IS3_EEb
	.p2align	8
	.type	_ZN9rocsparseL12csrilu0_hashILj256ELj32ELj1EfEEviPKiS2_PT2_S2_PiS2_S5_S5_d21rocsparse_index_base_imNS_24const_host_device_scalarIfEENS7_IdEENS7_IS3_EEb,@function
_ZN9rocsparseL12csrilu0_hashILj256ELj32ELj1EfEEviPKiS2_PT2_S2_PiS2_S5_S5_d21rocsparse_index_base_imNS_24const_host_device_scalarIfEENS7_IdEENS7_IS3_EEb: ; @_ZN9rocsparseL12csrilu0_hashILj256ELj32ELj1EfEEviPKiS2_PT2_S2_PiS2_S5_S5_d21rocsparse_index_base_imNS_24const_host_device_scalarIfEENS7_IdEENS7_IS3_EEb
; %bb.0:
	s_clause 0x2
	s_load_b32 s2, s[0:1], 0x78
	s_load_b64 s[28:29], s[0:1], 0x50
	s_load_b256 s[20:27], s[0:1], 0x58
	s_wait_kmcnt 0x0
	s_bitcmp1_b32 s2, 0
	s_cselect_b32 s2, -1, 0
	s_cmp_eq_u32 s29, 0
	s_cselect_b32 s4, -1, 0
	s_cmp_lg_u32 s29, 0
	s_cselect_b32 s29, -1, 0
	s_or_b32 s6, s4, s2
	s_delay_alu instid0(SALU_CYCLE_1)
	s_xor_b32 s5, s6, -1
	s_and_b32 s2, s4, exec_lo
	s_cselect_b32 s3, 0, s25
	s_cselect_b32 s2, 0, s24
	;; [unrolled: 1-line block ×3, first 2 shown]
	s_and_b32 vcc_lo, exec_lo, s6
	s_cbranch_vccnz .LBB1_2
; %bb.1:
	s_load_b32 s30, s[22:23], 0x0
	s_mov_b64 s[2:3], s[24:25]
.LBB1_2:
	s_delay_alu instid0(SALU_CYCLE_1)
	v_mov_b64_e32 v[2:3], s[2:3]
	v_cndmask_b32_e64 v1, 0, 1, s5
	s_and_not1_b32 vcc_lo, exec_lo, s5
	s_cbranch_vccnz .LBB1_4
; %bb.3:
	v_mov_b32_e32 v2, 0
	flat_load_b64 v[2:3], v2, s[24:25]
.LBB1_4:
	s_delay_alu instid0(VALU_DEP_1)
	v_cmp_ne_u32_e32 vcc_lo, 1, v1
	s_and_b32 s2, s4, exec_lo
	s_cselect_b32 s3, 0, s26
	s_cbranch_vccnz .LBB1_6
; %bb.5:
	s_load_b32 s3, s[26:27], 0x0
.LBB1_6:
	s_load_b32 s2, s[0:1], 0x0
	s_bfe_u32 s4, ttmp6, 0x4000c
	s_and_b32 s5, ttmp6, 15
	s_add_co_i32 s4, s4, 1
	s_getreg_b32 s6, hwreg(HW_REG_IB_STS2, 6, 4)
	s_mul_i32 s4, ttmp9, s4
	v_and_b32_e32 v12, 31, v0
	s_add_co_i32 s5, s5, s4
	s_cmp_eq_u32 s6, 0
	v_and_b32_e32 v9, 0xe0, v0
	v_lshrrev_b32_e32 v0, 5, v0
	s_cselect_b32 s4, ttmp9, s5
	v_mov_b32_e32 v4, -1
	s_lshl_b32 s4, s4, 3
	v_lshl_or_b32 v5, v9, 2, 0x400
	v_and_or_b32 v0, 0x7fffff8, s4, v0
	s_delay_alu instid0(VALU_DEP_2) | instskip(SKIP_1) | instid1(VALU_DEP_2)
	v_lshl_or_b32 v1, v12, 2, v5
	s_wait_kmcnt 0x0
	v_cmp_gt_i32_e32 vcc_lo, s2, v0
	ds_store_b32 v1, v4
	s_wait_loadcnt_dscnt 0x0
	s_and_saveexec_b32 s2, vcc_lo
	s_cbranch_execz .LBB1_78
; %bb.7:
	s_load_b512 s[4:19], s[0:1], 0x8
	s_mov_b32 s2, exec_lo
	v_lshlrev_b32_e32 v13, 2, v9
	s_wait_kmcnt 0x0
	global_load_b32 v0, v0, s[14:15] scale_offset
	s_wait_loadcnt 0x0
	v_ashrrev_i32_e32 v1, 31, v0
	s_delay_alu instid0(VALU_DEP_1)
	v_lshl_add_u64 v[6:7], v[0:1], 2, s[4:5]
	global_load_b64 v[10:11], v[6:7], off
	global_load_b32 v4, v0, s[10:11] scale_offset
	s_wait_loadcnt 0x1
	s_wait_xcnt 0x1
	v_subrev_nc_u32_e32 v6, s28, v10
	v_subrev_nc_u32_e32 v7, s28, v11
	s_delay_alu instid0(VALU_DEP_2) | instskip(SKIP_1) | instid1(VALU_DEP_1)
	v_add_nc_u32_e32 v8, v6, v12
	s_wait_xcnt 0x0
	v_cmpx_lt_i32_e64 v8, v7
	s_cbranch_execz .LBB1_30
; %bb.8:
	v_mov_b32_e32 v9, -1
	s_mov_b32 s14, 0
	s_branch .LBB1_10
.LBB1_9:                                ;   in Loop: Header=BB1_10 Depth=1
	s_or_b32 exec_lo, exec_lo, s15
	v_add_nc_u32_e32 v8, 32, v8
	s_delay_alu instid0(VALU_DEP_1) | instskip(SKIP_1) | instid1(SALU_CYCLE_1)
	v_cmp_ge_i32_e32 vcc_lo, v8, v7
	s_or_b32 s14, vcc_lo, s14
	s_and_not1_b32 exec_lo, exec_lo, s14
	s_cbranch_execz .LBB1_30
.LBB1_10:                               ; =>This Loop Header: Depth=1
                                        ;     Child Loop BB1_19 Depth 2
	global_load_b32 v10, v8, s[6:7] scale_offset
	v_mov_b32_e32 v11, 32
	s_mov_b32 s15, 0
                                        ; implicit-def: $sgpr22
                                        ; implicit-def: $sgpr23
                                        ; implicit-def: $sgpr24
	s_wait_loadcnt 0x0
	v_mul_lo_u32 v15, v10, 7
	s_branch .LBB1_19
.LBB1_11:                               ;   in Loop: Header=BB1_19 Depth=2
	s_or_b32 exec_lo, exec_lo, s38
	s_delay_alu instid0(SALU_CYCLE_1)
	s_or_not1_b32 s36, s36, exec_lo
	s_or_not1_b32 s37, s37, exec_lo
.LBB1_12:                               ;   in Loop: Header=BB1_19 Depth=2
	s_or_b32 exec_lo, exec_lo, s35
	s_delay_alu instid0(SALU_CYCLE_1)
	s_and_b32 s36, s36, exec_lo
	s_or_not1_b32 s35, s37, exec_lo
.LBB1_13:                               ;   in Loop: Header=BB1_19 Depth=2
	s_or_b32 exec_lo, exec_lo, s34
	s_delay_alu instid0(SALU_CYCLE_1)
	s_or_not1_b32 s34, s36, exec_lo
	s_or_not1_b32 s35, s35, exec_lo
.LBB1_14:                               ;   in Loop: Header=BB1_19 Depth=2
	s_or_b32 exec_lo, exec_lo, s33
	s_delay_alu instid0(SALU_CYCLE_1)
	s_and_b32 s34, s34, exec_lo
	s_or_not1_b32 s33, s35, exec_lo
.LBB1_15:                               ;   in Loop: Header=BB1_19 Depth=2
	s_or_b32 exec_lo, exec_lo, s31
	s_delay_alu instid0(SALU_CYCLE_1)
	s_or_not1_b32 s31, s34, exec_lo
	s_or_not1_b32 s33, s33, exec_lo
.LBB1_16:                               ;   in Loop: Header=BB1_19 Depth=2
	s_or_b32 exec_lo, exec_lo, s27
	s_delay_alu instid0(SALU_CYCLE_1)
	s_and_b32 s31, s31, exec_lo
	s_or_not1_b32 s27, s33, exec_lo
.LBB1_17:                               ;   in Loop: Header=BB1_19 Depth=2
	s_or_b32 exec_lo, exec_lo, s26
	s_delay_alu instid0(SALU_CYCLE_1)
	s_and_not1_b32 s24, s24, exec_lo
	s_and_b32 s26, s31, exec_lo
	s_and_not1_b32 s23, s23, exec_lo
	s_and_b32 s27, s27, exec_lo
	s_or_b32 s24, s24, s26
	s_or_b32 s23, s23, s27
.LBB1_18:                               ;   in Loop: Header=BB1_19 Depth=2
	s_or_b32 exec_lo, exec_lo, s25
	s_delay_alu instid0(SALU_CYCLE_1) | instskip(NEXT) | instid1(SALU_CYCLE_1)
	s_and_b32 s25, exec_lo, s23
	s_or_b32 s15, s25, s15
	s_and_not1_b32 s22, s22, exec_lo
	s_and_b32 s25, s24, exec_lo
	s_delay_alu instid0(SALU_CYCLE_1)
	s_or_b32 s22, s22, s25
	s_and_not1_b32 exec_lo, exec_lo, s15
	s_cbranch_execz .LBB1_28
.LBB1_19:                               ;   Parent Loop BB1_10 Depth=1
                                        ; =>  This Inner Loop Header: Depth=2
	s_delay_alu instid0(VALU_DEP_1) | instskip(SKIP_3) | instid1(VALU_DEP_1)
	v_and_b32_e32 v14, 31, v15
	s_or_b32 s24, s24, exec_lo
	s_or_b32 s23, s23, exec_lo
	s_mov_b32 s25, exec_lo
	v_lshl_add_u32 v16, v14, 2, v5
	ds_load_b32 v17, v16
	s_wait_dscnt 0x0
	s_wait_xcnt 0x0
	v_cmpx_ne_u32_e64 v17, v10
	s_cbranch_execz .LBB1_18
; %bb.20:                               ;   in Loop: Header=BB1_19 Depth=2
	ds_cmpstore_rtn_b32 v16, v16, v10, v9
	s_mov_b32 s27, -1
	s_mov_b32 s31, 0
	s_mov_b32 s26, exec_lo
	s_wait_dscnt 0x0
	v_cmpx_ne_u32_e32 -1, v16
	s_cbranch_execz .LBB1_17
; %bb.21:                               ;   in Loop: Header=BB1_19 Depth=2
	v_add_nc_u32_e32 v14, 1, v15
	s_mov_b32 s33, -1
	s_mov_b32 s31, -1
	s_mov_b32 s27, exec_lo
	s_delay_alu instid0(VALU_DEP_1) | instskip(NEXT) | instid1(VALU_DEP_1)
	v_and_b32_e32 v14, 31, v14
	v_lshl_add_u32 v16, v14, 2, v5
	ds_load_b32 v17, v16
	s_wait_dscnt 0x0
	v_cmpx_ne_u32_e64 v17, v10
	s_cbranch_execz .LBB1_16
; %bb.22:                               ;   in Loop: Header=BB1_19 Depth=2
	ds_cmpstore_rtn_b32 v16, v16, v10, v9
	s_mov_b32 s34, 0
	s_mov_b32 s31, exec_lo
	s_wait_dscnt 0x0
	v_cmpx_ne_u32_e32 -1, v16
	s_cbranch_execz .LBB1_15
; %bb.23:                               ;   in Loop: Header=BB1_19 Depth=2
	v_add_nc_u32_e32 v14, 2, v15
	s_mov_b32 s35, -1
	s_mov_b32 s34, -1
	s_mov_b32 s33, exec_lo
	s_delay_alu instid0(VALU_DEP_1) | instskip(NEXT) | instid1(VALU_DEP_1)
	v_and_b32_e32 v14, 31, v14
	v_lshl_add_u32 v16, v14, 2, v5
	ds_load_b32 v17, v16
	s_wait_dscnt 0x0
	v_cmpx_ne_u32_e64 v17, v10
	s_cbranch_execz .LBB1_14
; %bb.24:                               ;   in Loop: Header=BB1_19 Depth=2
	ds_cmpstore_rtn_b32 v16, v16, v10, v9
	s_mov_b32 s36, 0
	s_mov_b32 s34, exec_lo
	s_wait_dscnt 0x0
	v_cmpx_ne_u32_e32 -1, v16
	s_cbranch_execz .LBB1_13
; %bb.25:                               ;   in Loop: Header=BB1_19 Depth=2
	v_add_nc_u32_e32 v14, 3, v15
	s_mov_b32 s37, -1
	s_mov_b32 s36, -1
	s_delay_alu instid0(VALU_DEP_1) | instskip(NEXT) | instid1(VALU_DEP_1)
	v_and_b32_e32 v14, 31, v14
	v_lshl_add_u32 v16, v14, 2, v5
	ds_load_b32 v15, v16
	s_wait_dscnt 0x0
	v_cmp_ne_u32_e32 vcc_lo, v15, v10
                                        ; implicit-def: $vgpr15
	s_and_saveexec_b32 s35, vcc_lo
	s_cbranch_execz .LBB1_12
; %bb.26:                               ;   in Loop: Header=BB1_19 Depth=2
	ds_cmpstore_rtn_b32 v15, v16, v10, v9
	s_mov_b32 s36, 0
	s_wait_dscnt 0x0
	v_cmp_ne_u32_e32 vcc_lo, -1, v15
                                        ; implicit-def: $vgpr15
	s_and_saveexec_b32 s38, vcc_lo
	s_cbranch_execz .LBB1_11
; %bb.27:                               ;   in Loop: Header=BB1_19 Depth=2
	v_dual_add_nc_u32 v11, -4, v11 :: v_dual_add_nc_u32 v15, 1, v14
	s_mov_b32 s36, exec_lo
	s_delay_alu instid0(VALU_DEP_1)
	v_cmp_eq_u32_e32 vcc_lo, 0, v11
	s_or_not1_b32 s37, vcc_lo, exec_lo
	s_branch .LBB1_11
.LBB1_28:                               ;   in Loop: Header=BB1_10 Depth=1
	s_or_b32 exec_lo, exec_lo, s15
	s_xor_b32 s15, s22, -1
	s_delay_alu instid0(SALU_CYCLE_1) | instskip(NEXT) | instid1(SALU_CYCLE_1)
	s_and_saveexec_b32 s22, s15
	s_xor_b32 s15, exec_lo, s22
	s_cbranch_execz .LBB1_9
; %bb.29:                               ;   in Loop: Header=BB1_10 Depth=1
	v_lshl_add_u32 v10, v14, 2, v13
	ds_store_b32 v10, v8
	s_branch .LBB1_9
.LBB1_30:
	s_or_b32 exec_lo, exec_lo, s2
	s_delay_alu instid0(SALU_CYCLE_1)
	s_mov_b32 s2, exec_lo
	s_wait_loadcnt_dscnt 0x0
	v_cmpx_lt_i32_e64 v6, v4
	s_cbranch_execz .LBB1_60
; %bb.31:
	v_add_nc_u32_e32 v14, 1, v12
	s_mov_b32 s14, 0
	s_branch .LBB1_34
.LBB1_32:                               ;   in Loop: Header=BB1_34 Depth=1
	s_or_b32 exec_lo, exec_lo, s22
	v_add_nc_u32_e32 v6, 1, v6
	s_delay_alu instid0(VALU_DEP_1)
	v_cmp_ge_i32_e32 vcc_lo, v6, v4
	s_or_not1_b32 s22, vcc_lo, exec_lo
.LBB1_33:                               ;   in Loop: Header=BB1_34 Depth=1
	s_or_b32 exec_lo, exec_lo, s15
	s_delay_alu instid0(SALU_CYCLE_1) | instskip(NEXT) | instid1(SALU_CYCLE_1)
	s_and_b32 s15, exec_lo, s22
	s_or_b32 s14, s15, s14
	s_delay_alu instid0(SALU_CYCLE_1)
	s_and_not1_b32 exec_lo, exec_lo, s14
	s_cbranch_execz .LBB1_60
.LBB1_34:                               ; =>This Loop Header: Depth=1
                                        ;     Child Loop BB1_35 Depth 2
                                        ;     Child Loop BB1_40 Depth 2
                                        ;       Child Loop BB1_49 Depth 3
	s_clause 0x1
	global_load_b32 v7, v6, s[6:7] scale_offset
	global_load_b32 v15, v6, s[8:9] scale_offset
	s_mov_b32 s15, 0
	s_wait_loadcnt 0x1
	v_subrev_nc_u32_e32 v8, s28, v7
	v_ashrrev_i32_e32 v7, 31, v6
	s_clause 0x1
	global_load_b32 v17, v8, s[4:5] offset:4 scale_offset
	global_load_b32 v16, v8, s[10:11] scale_offset
	v_ashrrev_i32_e32 v9, 31, v8
	v_lshl_add_u64 v[10:11], v[6:7], 2, s[8:9]
	s_wait_xcnt 0x0
	s_delay_alu instid0(VALU_DEP_2)
	v_lshl_add_u64 v[8:9], v[8:9], 2, s[12:13]
.LBB1_35:                               ;   Parent Loop BB1_34 Depth=1
                                        ; =>  This Inner Loop Header: Depth=2
	global_load_b32 v7, v[8:9], off scope:SCOPE_DEV
	s_wait_loadcnt 0x0
	v_cmp_ne_u32_e32 vcc_lo, 0, v7
	s_or_b32 s15, vcc_lo, s15
	s_wait_xcnt 0x0
	s_and_not1_b32 exec_lo, exec_lo, s15
	s_cbranch_execnz .LBB1_35
; %bb.36:                               ;   in Loop: Header=BB1_34 Depth=1
	s_or_b32 exec_lo, exec_lo, s15
	v_subrev_nc_u32_e32 v7, s28, v17
	v_cmp_eq_u32_e32 vcc_lo, -1, v16
	global_inv scope:SCOPE_DEV
	s_mov_b32 s22, -1
	s_mov_b32 s15, exec_lo
	v_add_nc_u32_e32 v8, -1, v7
	s_delay_alu instid0(VALU_DEP_1)
	v_cndmask_b32_e32 v8, v16, v8, vcc_lo
	global_load_b32 v9, v8, s[8:9] scale_offset
	s_wait_loadcnt 0x0
	s_wait_xcnt 0x0
	v_cmpx_neq_f32_e32 0, v9
	s_cbranch_execz .LBB1_33
; %bb.37:                               ;   in Loop: Header=BB1_34 Depth=1
	v_div_scale_f32 v16, null, v9, v9, v15
	s_mov_b32 s22, exec_lo
	v_add_nc_u32_e32 v8, v14, v8
	v_rcp_f32_e32 v17, v16
	v_nop
	s_delay_alu instid0(TRANS32_DEP_1) | instskip(NEXT) | instid1(VALU_DEP_1)
	v_fma_f32 v18, -v16, v17, 1.0
	v_fmac_f32_e32 v17, v18, v17
	v_div_scale_f32 v18, vcc_lo, v15, v9, v15
	s_delay_alu instid0(VALU_DEP_1) | instskip(NEXT) | instid1(VALU_DEP_1)
	v_mul_f32_e32 v19, v18, v17
	v_fma_f32 v20, -v16, v19, v18
	s_delay_alu instid0(VALU_DEP_1) | instskip(NEXT) | instid1(VALU_DEP_1)
	v_fmac_f32_e32 v19, v20, v17
	v_fma_f32 v16, -v16, v19, v18
	s_delay_alu instid0(VALU_DEP_1) | instskip(NEXT) | instid1(VALU_DEP_1)
	v_div_fmas_f32 v16, v16, v17, v19
	v_div_fixup_f32 v15, v16, v9, v15
	global_store_b32 v[10:11], v15, off
	s_wait_xcnt 0x0
	v_cmpx_lt_i32_e64 v8, v7
	s_cbranch_execz .LBB1_32
; %bb.38:                               ;   in Loop: Header=BB1_34 Depth=1
	s_mov_b32 s23, 0
	s_branch .LBB1_40
.LBB1_39:                               ;   in Loop: Header=BB1_40 Depth=2
	s_wait_xcnt 0x0
	s_or_b32 exec_lo, exec_lo, s24
	v_add_nc_u32_e32 v8, 32, v8
	s_delay_alu instid0(VALU_DEP_1) | instskip(SKIP_1) | instid1(SALU_CYCLE_1)
	v_cmp_ge_i32_e32 vcc_lo, v8, v7
	s_or_b32 s23, vcc_lo, s23
	s_and_not1_b32 exec_lo, exec_lo, s23
	s_cbranch_execz .LBB1_32
.LBB1_40:                               ;   Parent Loop BB1_34 Depth=1
                                        ; =>  This Loop Header: Depth=2
                                        ;       Child Loop BB1_49 Depth 3
	global_load_b32 v10, v8, s[6:7] scale_offset
	v_dual_ashrrev_i32 v9, 31, v8 :: v_dual_mov_b32 v11, 32
	s_mov_b32 s24, 0
                                        ; implicit-def: $sgpr25
                                        ; implicit-def: $sgpr26
                                        ; implicit-def: $sgpr27
	s_wait_loadcnt 0x0
	v_mul_lo_u32 v17, v10, 7
	s_branch .LBB1_49
.LBB1_41:                               ;   in Loop: Header=BB1_49 Depth=3
	s_or_b32 exec_lo, exec_lo, s41
	s_delay_alu instid0(SALU_CYCLE_1)
	s_or_not1_b32 s39, s39, exec_lo
	s_or_not1_b32 s40, s40, exec_lo
.LBB1_42:                               ;   in Loop: Header=BB1_49 Depth=3
	s_or_b32 exec_lo, exec_lo, s38
	s_delay_alu instid0(SALU_CYCLE_1)
	s_and_b32 s39, s39, exec_lo
	s_or_not1_b32 s38, s40, exec_lo
.LBB1_43:                               ;   in Loop: Header=BB1_49 Depth=3
	s_or_b32 exec_lo, exec_lo, s37
	s_delay_alu instid0(SALU_CYCLE_1)
	s_or_not1_b32 s37, s39, exec_lo
	s_or_not1_b32 s38, s38, exec_lo
.LBB1_44:                               ;   in Loop: Header=BB1_49 Depth=3
	s_or_b32 exec_lo, exec_lo, s36
	s_delay_alu instid0(SALU_CYCLE_1)
	s_and_b32 s37, s37, exec_lo
	s_or_not1_b32 s36, s38, exec_lo
.LBB1_45:                               ;   in Loop: Header=BB1_49 Depth=3
	s_or_b32 exec_lo, exec_lo, s35
	s_delay_alu instid0(SALU_CYCLE_1)
	s_or_not1_b32 s35, s37, exec_lo
	s_or_not1_b32 s36, s36, exec_lo
.LBB1_46:                               ;   in Loop: Header=BB1_49 Depth=3
	s_or_b32 exec_lo, exec_lo, s34
	s_delay_alu instid0(SALU_CYCLE_1)
	s_and_b32 s35, s35, exec_lo
	s_or_not1_b32 s34, s36, exec_lo
.LBB1_47:                               ;   in Loop: Header=BB1_49 Depth=3
	s_or_b32 exec_lo, exec_lo, s33
	s_delay_alu instid0(SALU_CYCLE_1)
	s_and_not1_b32 s27, s27, exec_lo
	s_and_b32 s33, s35, exec_lo
	s_and_not1_b32 s26, s26, exec_lo
	s_and_b32 s34, s34, exec_lo
	s_or_b32 s27, s27, s33
	s_or_b32 s26, s26, s34
.LBB1_48:                               ;   in Loop: Header=BB1_49 Depth=3
	s_or_b32 exec_lo, exec_lo, s31
	s_delay_alu instid0(SALU_CYCLE_1) | instskip(NEXT) | instid1(SALU_CYCLE_1)
	s_and_b32 s31, exec_lo, s26
	s_or_b32 s24, s31, s24
	s_and_not1_b32 s25, s25, exec_lo
	s_and_b32 s31, s27, exec_lo
	s_delay_alu instid0(SALU_CYCLE_1)
	s_or_b32 s25, s25, s31
	s_and_not1_b32 exec_lo, exec_lo, s24
	s_cbranch_execz .LBB1_58
.LBB1_49:                               ;   Parent Loop BB1_34 Depth=1
                                        ;     Parent Loop BB1_40 Depth=2
                                        ; =>    This Inner Loop Header: Depth=3
	s_delay_alu instid0(VALU_DEP_1) | instskip(SKIP_3) | instid1(VALU_DEP_1)
	v_and_b32_e32 v16, 31, v17
	s_or_b32 s27, s27, exec_lo
	s_or_b32 s26, s26, exec_lo
	s_mov_b32 s31, exec_lo
	v_lshl_add_u32 v18, v16, 2, v5
	ds_load_b32 v18, v18
	s_wait_dscnt 0x0
	s_wait_xcnt 0x0
	v_cmpx_ne_u32_e32 -1, v18
	s_cbranch_execz .LBB1_48
; %bb.50:                               ;   in Loop: Header=BB1_49 Depth=3
	s_mov_b32 s34, -1
	s_mov_b32 s35, 0
	s_mov_b32 s33, exec_lo
	v_cmpx_ne_u32_e64 v18, v10
	s_cbranch_execz .LBB1_47
; %bb.51:                               ;   in Loop: Header=BB1_49 Depth=3
	v_add_nc_u32_e32 v16, 1, v17
	s_mov_b32 s36, -1
	s_mov_b32 s35, -1
	s_mov_b32 s34, exec_lo
	s_delay_alu instid0(VALU_DEP_1) | instskip(NEXT) | instid1(VALU_DEP_1)
	v_and_b32_e32 v16, 31, v16
	v_lshl_add_u32 v18, v16, 2, v5
	ds_load_b32 v18, v18
	s_wait_dscnt 0x0
	v_cmpx_ne_u32_e32 -1, v18
	s_cbranch_execz .LBB1_46
; %bb.52:                               ;   in Loop: Header=BB1_49 Depth=3
	s_mov_b32 s37, 0
	s_mov_b32 s35, exec_lo
	v_cmpx_ne_u32_e64 v18, v10
	s_cbranch_execz .LBB1_45
; %bb.53:                               ;   in Loop: Header=BB1_49 Depth=3
	v_add_nc_u32_e32 v16, 2, v17
	s_mov_b32 s38, -1
	s_mov_b32 s37, -1
	s_mov_b32 s36, exec_lo
	s_delay_alu instid0(VALU_DEP_1) | instskip(NEXT) | instid1(VALU_DEP_1)
	v_and_b32_e32 v16, 31, v16
	v_lshl_add_u32 v18, v16, 2, v5
	ds_load_b32 v18, v18
	s_wait_dscnt 0x0
	v_cmpx_ne_u32_e32 -1, v18
	s_cbranch_execz .LBB1_44
; %bb.54:                               ;   in Loop: Header=BB1_49 Depth=3
	s_mov_b32 s39, 0
	s_mov_b32 s37, exec_lo
	v_cmpx_ne_u32_e64 v18, v10
	s_cbranch_execz .LBB1_43
; %bb.55:                               ;   in Loop: Header=BB1_49 Depth=3
	v_add_nc_u32_e32 v16, 3, v17
	s_mov_b32 s40, -1
	s_mov_b32 s39, -1
	s_mov_b32 s38, exec_lo
	s_delay_alu instid0(VALU_DEP_1) | instskip(NEXT) | instid1(VALU_DEP_1)
	v_and_b32_e32 v16, 31, v16
	v_lshl_add_u32 v17, v16, 2, v5
	ds_load_b32 v18, v17
                                        ; implicit-def: $vgpr17
	s_wait_dscnt 0x0
	v_cmpx_ne_u32_e32 -1, v18
	s_cbranch_execz .LBB1_42
; %bb.56:                               ;   in Loop: Header=BB1_49 Depth=3
	s_mov_b32 s39, 0
	s_mov_b32 s41, exec_lo
                                        ; implicit-def: $vgpr17
	v_cmpx_ne_u32_e64 v18, v10
	s_cbranch_execz .LBB1_41
; %bb.57:                               ;   in Loop: Header=BB1_49 Depth=3
	v_dual_add_nc_u32 v11, -4, v11 :: v_dual_add_nc_u32 v17, 1, v16
	s_mov_b32 s39, exec_lo
	s_delay_alu instid0(VALU_DEP_1)
	v_cmp_eq_u32_e32 vcc_lo, 0, v11
	s_or_not1_b32 s40, vcc_lo, exec_lo
	s_branch .LBB1_41
.LBB1_58:                               ;   in Loop: Header=BB1_40 Depth=2
	s_or_b32 exec_lo, exec_lo, s24
	s_xor_b32 s24, s25, -1
	s_delay_alu instid0(SALU_CYCLE_1) | instskip(NEXT) | instid1(SALU_CYCLE_1)
	s_and_saveexec_b32 s25, s24
	s_xor_b32 s24, exec_lo, s25
	s_cbranch_execz .LBB1_39
; %bb.59:                               ;   in Loop: Header=BB1_40 Depth=2
	v_lshl_add_u32 v10, v16, 2, v13
	ds_load_b32 v16, v10
	v_lshl_add_u64 v[10:11], v[8:9], 2, s[8:9]
	global_load_b32 v9, v[10:11], off
	s_wait_dscnt 0x0
	global_load_b32 v17, v16, s[8:9] scale_offset
	s_wait_loadcnt 0x0
	v_fma_f32 v9, -v15, v9, v17
	global_store_b32 v16, v9, s[8:9] scale_offset
	s_branch .LBB1_39
.LBB1_60:
	s_or_b32 exec_lo, exec_lo, s2
	s_mov_b32 s5, -1
	s_mov_b32 s4, exec_lo
	s_wait_storecnt 0x0
	v_cmpx_lt_i32_e32 -1, v4
	s_cbranch_execz .LBB1_76
; %bb.61:
	global_load_b32 v8, v4, s[8:9] scale_offset
	v_cmp_eq_u32_e64 s2, 0, v12
	s_wait_loadcnt 0x0
	v_cmp_gt_f32_e32 vcc_lo, 0, v8
	v_cndmask_b32_e64 v5, v8, -v8, vcc_lo
	s_and_not1_b32 vcc_lo, exec_lo, s29
	s_delay_alu instid0(VALU_DEP_1)
	v_cvt_f64_f32_e32 v[6:7], v5
	s_cbranch_vccnz .LBB1_65
; %bb.62:
	v_cvt_f64_f32_e32 v[10:11], s30
	s_cmp_eq_u64 s[20:21], 8
	s_cselect_b32 vcc_lo, -1, 0
	s_delay_alu instid0(VALU_DEP_1) | instskip(NEXT) | instid1(VALU_DEP_1)
	v_dual_cndmask_b32 v3, v11, v3 :: v_dual_cndmask_b32 v2, v10, v2
	v_cmp_ge_f64_e32 vcc_lo, v[2:3], v[6:7]
	s_and_b32 s6, s2, vcc_lo
	s_delay_alu instid0(SALU_CYCLE_1)
	s_and_saveexec_b32 s5, s6
	s_cbranch_execz .LBB1_64
; %bb.63:
	v_dual_mov_b32 v5, 0 :: v_dual_mov_b32 v9, s3
	s_delay_alu instid0(VALU_DEP_1)
	v_lshl_add_u64 v[2:3], v[4:5], 2, s[8:9]
	global_store_b32 v[2:3], v9, off
	global_wb scope:SCOPE_DEV
	s_wait_storecnt 0x0
	global_inv scope:SCOPE_DEV
.LBB1_64:
	s_wait_xcnt 0x0
	s_or_b32 exec_lo, exec_lo, s5
	s_mov_b32 s5, 0
.LBB1_65:
	s_delay_alu instid0(SALU_CYCLE_1)
	s_and_not1_b32 vcc_lo, exec_lo, s5
	s_cbranch_vccnz .LBB1_76
; %bb.66:
	s_load_b64 s[0:1], s[0:1], 0x48
	v_add_nc_u32_e32 v2, s28, v0
	s_wait_kmcnt 0x0
	s_delay_alu instid0(VALU_DEP_2) | instskip(SKIP_1) | instid1(SALU_CYCLE_1)
	v_cmp_ge_f64_e32 vcc_lo, s[0:1], v[6:7]
	s_and_b32 s1, s2, vcc_lo
	s_and_saveexec_b32 s0, s1
	s_cbranch_execz .LBB1_71
; %bb.67:
	s_mov_b32 s3, exec_lo
	s_brev_b32 s1, -2
.LBB1_68:                               ; =>This Inner Loop Header: Depth=1
	s_ctz_i32_b32 s5, s3
	s_delay_alu instid0(SALU_CYCLE_1) | instskip(SKIP_1) | instid1(SALU_CYCLE_1)
	v_readlane_b32 s6, v2, s5
	s_lshl_b32 s5, 1, s5
	s_and_not1_b32 s3, s3, s5
	s_min_i32 s1, s1, s6
	s_cmp_lg_u32 s3, 0
	s_cbranch_scc1 .LBB1_68
; %bb.69:
	v_mbcnt_lo_u32_b32 v3, exec_lo, 0
	s_mov_b32 s3, exec_lo
	s_delay_alu instid0(VALU_DEP_1)
	v_cmpx_eq_u32_e32 0, v3
	s_xor_b32 s3, exec_lo, s3
	s_cbranch_execz .LBB1_71
; %bb.70:
	v_dual_mov_b32 v3, 0 :: v_dual_mov_b32 v4, s1
	global_atomic_min_i32 v3, v4, s[18:19] scope:SCOPE_DEV
.LBB1_71:
	s_wait_xcnt 0x0
	s_or_b32 exec_lo, exec_lo, s0
	v_cmp_eq_f32_e32 vcc_lo, 0, v8
	s_and_b32 s0, s2, vcc_lo
	s_delay_alu instid0(SALU_CYCLE_1)
	s_and_b32 exec_lo, exec_lo, s0
	s_cbranch_execz .LBB1_76
; %bb.72:
	s_mov_b32 s1, exec_lo
	s_brev_b32 s0, -2
.LBB1_73:                               ; =>This Inner Loop Header: Depth=1
	s_ctz_i32_b32 s2, s1
	s_delay_alu instid0(SALU_CYCLE_1) | instskip(SKIP_1) | instid1(SALU_CYCLE_1)
	v_readlane_b32 s3, v2, s2
	s_lshl_b32 s2, 1, s2
	s_and_not1_b32 s1, s1, s2
	s_min_i32 s0, s0, s3
	s_cmp_lg_u32 s1, 0
	s_cbranch_scc1 .LBB1_73
; %bb.74:
	v_mbcnt_lo_u32_b32 v2, exec_lo, 0
	s_mov_b32 s1, exec_lo
	s_delay_alu instid0(VALU_DEP_1)
	v_cmpx_eq_u32_e32 0, v2
	s_xor_b32 s1, exec_lo, s1
	s_cbranch_execz .LBB1_76
; %bb.75:
	v_dual_mov_b32 v2, 0 :: v_dual_mov_b32 v3, s0
	global_atomic_min_i32 v2, v3, s[16:17] scope:SCOPE_DEV
.LBB1_76:
	s_wait_xcnt 0x0
	s_or_b32 exec_lo, exec_lo, s4
	v_cmp_eq_u32_e32 vcc_lo, 0, v12
	global_wb scope:SCOPE_DEV
	s_wait_loadcnt 0x0
	s_wait_storecnt 0x0
	global_inv scope:SCOPE_DEV
	s_and_b32 exec_lo, exec_lo, vcc_lo
	s_cbranch_execz .LBB1_78
; %bb.77:
	v_lshl_add_u64 v[0:1], v[0:1], 2, s[12:13]
	v_mov_b32_e32 v2, 1
	global_wb scope:SCOPE_DEV
	s_wait_loadcnt 0x0
	s_wait_storecnt 0x0
	global_store_b32 v[0:1], v2, off scope:SCOPE_DEV
.LBB1_78:
	s_endpgm
	.section	.rodata,"a",@progbits
	.p2align	6, 0x0
	.amdhsa_kernel _ZN9rocsparseL12csrilu0_hashILj256ELj32ELj1EfEEviPKiS2_PT2_S2_PiS2_S5_S5_d21rocsparse_index_base_imNS_24const_host_device_scalarIfEENS7_IdEENS7_IS3_EEb
		.amdhsa_group_segment_fixed_size 2048
		.amdhsa_private_segment_fixed_size 0
		.amdhsa_kernarg_size 124
		.amdhsa_user_sgpr_count 2
		.amdhsa_user_sgpr_dispatch_ptr 0
		.amdhsa_user_sgpr_queue_ptr 0
		.amdhsa_user_sgpr_kernarg_segment_ptr 1
		.amdhsa_user_sgpr_dispatch_id 0
		.amdhsa_user_sgpr_kernarg_preload_length 0
		.amdhsa_user_sgpr_kernarg_preload_offset 0
		.amdhsa_user_sgpr_private_segment_size 0
		.amdhsa_wavefront_size32 1
		.amdhsa_uses_dynamic_stack 0
		.amdhsa_enable_private_segment 0
		.amdhsa_system_sgpr_workgroup_id_x 1
		.amdhsa_system_sgpr_workgroup_id_y 0
		.amdhsa_system_sgpr_workgroup_id_z 0
		.amdhsa_system_sgpr_workgroup_info 0
		.amdhsa_system_vgpr_workitem_id 0
		.amdhsa_next_free_vgpr 21
		.amdhsa_next_free_sgpr 42
		.amdhsa_named_barrier_count 0
		.amdhsa_reserve_vcc 1
		.amdhsa_float_round_mode_32 0
		.amdhsa_float_round_mode_16_64 0
		.amdhsa_float_denorm_mode_32 3
		.amdhsa_float_denorm_mode_16_64 3
		.amdhsa_fp16_overflow 0
		.amdhsa_memory_ordered 1
		.amdhsa_forward_progress 1
		.amdhsa_inst_pref_size 22
		.amdhsa_round_robin_scheduling 0
		.amdhsa_exception_fp_ieee_invalid_op 0
		.amdhsa_exception_fp_denorm_src 0
		.amdhsa_exception_fp_ieee_div_zero 0
		.amdhsa_exception_fp_ieee_overflow 0
		.amdhsa_exception_fp_ieee_underflow 0
		.amdhsa_exception_fp_ieee_inexact 0
		.amdhsa_exception_int_div_zero 0
	.end_amdhsa_kernel
	.section	.text._ZN9rocsparseL12csrilu0_hashILj256ELj32ELj1EfEEviPKiS2_PT2_S2_PiS2_S5_S5_d21rocsparse_index_base_imNS_24const_host_device_scalarIfEENS7_IdEENS7_IS3_EEb,"axG",@progbits,_ZN9rocsparseL12csrilu0_hashILj256ELj32ELj1EfEEviPKiS2_PT2_S2_PiS2_S5_S5_d21rocsparse_index_base_imNS_24const_host_device_scalarIfEENS7_IdEENS7_IS3_EEb,comdat
.Lfunc_end1:
	.size	_ZN9rocsparseL12csrilu0_hashILj256ELj32ELj1EfEEviPKiS2_PT2_S2_PiS2_S5_S5_d21rocsparse_index_base_imNS_24const_host_device_scalarIfEENS7_IdEENS7_IS3_EEb, .Lfunc_end1-_ZN9rocsparseL12csrilu0_hashILj256ELj32ELj1EfEEviPKiS2_PT2_S2_PiS2_S5_S5_d21rocsparse_index_base_imNS_24const_host_device_scalarIfEENS7_IdEENS7_IS3_EEb
                                        ; -- End function
	.set _ZN9rocsparseL12csrilu0_hashILj256ELj32ELj1EfEEviPKiS2_PT2_S2_PiS2_S5_S5_d21rocsparse_index_base_imNS_24const_host_device_scalarIfEENS7_IdEENS7_IS3_EEb.num_vgpr, 21
	.set _ZN9rocsparseL12csrilu0_hashILj256ELj32ELj1EfEEviPKiS2_PT2_S2_PiS2_S5_S5_d21rocsparse_index_base_imNS_24const_host_device_scalarIfEENS7_IdEENS7_IS3_EEb.num_agpr, 0
	.set _ZN9rocsparseL12csrilu0_hashILj256ELj32ELj1EfEEviPKiS2_PT2_S2_PiS2_S5_S5_d21rocsparse_index_base_imNS_24const_host_device_scalarIfEENS7_IdEENS7_IS3_EEb.numbered_sgpr, 42
	.set _ZN9rocsparseL12csrilu0_hashILj256ELj32ELj1EfEEviPKiS2_PT2_S2_PiS2_S5_S5_d21rocsparse_index_base_imNS_24const_host_device_scalarIfEENS7_IdEENS7_IS3_EEb.num_named_barrier, 0
	.set _ZN9rocsparseL12csrilu0_hashILj256ELj32ELj1EfEEviPKiS2_PT2_S2_PiS2_S5_S5_d21rocsparse_index_base_imNS_24const_host_device_scalarIfEENS7_IdEENS7_IS3_EEb.private_seg_size, 0
	.set _ZN9rocsparseL12csrilu0_hashILj256ELj32ELj1EfEEviPKiS2_PT2_S2_PiS2_S5_S5_d21rocsparse_index_base_imNS_24const_host_device_scalarIfEENS7_IdEENS7_IS3_EEb.uses_vcc, 1
	.set _ZN9rocsparseL12csrilu0_hashILj256ELj32ELj1EfEEviPKiS2_PT2_S2_PiS2_S5_S5_d21rocsparse_index_base_imNS_24const_host_device_scalarIfEENS7_IdEENS7_IS3_EEb.uses_flat_scratch, 0
	.set _ZN9rocsparseL12csrilu0_hashILj256ELj32ELj1EfEEviPKiS2_PT2_S2_PiS2_S5_S5_d21rocsparse_index_base_imNS_24const_host_device_scalarIfEENS7_IdEENS7_IS3_EEb.has_dyn_sized_stack, 0
	.set _ZN9rocsparseL12csrilu0_hashILj256ELj32ELj1EfEEviPKiS2_PT2_S2_PiS2_S5_S5_d21rocsparse_index_base_imNS_24const_host_device_scalarIfEENS7_IdEENS7_IS3_EEb.has_recursion, 0
	.set _ZN9rocsparseL12csrilu0_hashILj256ELj32ELj1EfEEviPKiS2_PT2_S2_PiS2_S5_S5_d21rocsparse_index_base_imNS_24const_host_device_scalarIfEENS7_IdEENS7_IS3_EEb.has_indirect_call, 0
	.section	.AMDGPU.csdata,"",@progbits
; Kernel info:
; codeLenInByte = 2736
; TotalNumSgprs: 44
; NumVgprs: 21
; ScratchSize: 0
; MemoryBound: 0
; FloatMode: 240
; IeeeMode: 1
; LDSByteSize: 2048 bytes/workgroup (compile time only)
; SGPRBlocks: 0
; VGPRBlocks: 1
; NumSGPRsForWavesPerEU: 44
; NumVGPRsForWavesPerEU: 21
; NamedBarCnt: 0
; Occupancy: 16
; WaveLimiterHint : 1
; COMPUTE_PGM_RSRC2:SCRATCH_EN: 0
; COMPUTE_PGM_RSRC2:USER_SGPR: 2
; COMPUTE_PGM_RSRC2:TRAP_HANDLER: 0
; COMPUTE_PGM_RSRC2:TGID_X_EN: 1
; COMPUTE_PGM_RSRC2:TGID_Y_EN: 0
; COMPUTE_PGM_RSRC2:TGID_Z_EN: 0
; COMPUTE_PGM_RSRC2:TIDIG_COMP_CNT: 0
	.section	.text._ZN9rocsparseL12csrilu0_hashILj256ELj32ELj2EfEEviPKiS2_PT2_S2_PiS2_S5_S5_d21rocsparse_index_base_imNS_24const_host_device_scalarIfEENS7_IdEENS7_IS3_EEb,"axG",@progbits,_ZN9rocsparseL12csrilu0_hashILj256ELj32ELj2EfEEviPKiS2_PT2_S2_PiS2_S5_S5_d21rocsparse_index_base_imNS_24const_host_device_scalarIfEENS7_IdEENS7_IS3_EEb,comdat
	.globl	_ZN9rocsparseL12csrilu0_hashILj256ELj32ELj2EfEEviPKiS2_PT2_S2_PiS2_S5_S5_d21rocsparse_index_base_imNS_24const_host_device_scalarIfEENS7_IdEENS7_IS3_EEb ; -- Begin function _ZN9rocsparseL12csrilu0_hashILj256ELj32ELj2EfEEviPKiS2_PT2_S2_PiS2_S5_S5_d21rocsparse_index_base_imNS_24const_host_device_scalarIfEENS7_IdEENS7_IS3_EEb
	.p2align	8
	.type	_ZN9rocsparseL12csrilu0_hashILj256ELj32ELj2EfEEviPKiS2_PT2_S2_PiS2_S5_S5_d21rocsparse_index_base_imNS_24const_host_device_scalarIfEENS7_IdEENS7_IS3_EEb,@function
_ZN9rocsparseL12csrilu0_hashILj256ELj32ELj2EfEEviPKiS2_PT2_S2_PiS2_S5_S5_d21rocsparse_index_base_imNS_24const_host_device_scalarIfEENS7_IdEENS7_IS3_EEb: ; @_ZN9rocsparseL12csrilu0_hashILj256ELj32ELj2EfEEviPKiS2_PT2_S2_PiS2_S5_S5_d21rocsparse_index_base_imNS_24const_host_device_scalarIfEENS7_IdEENS7_IS3_EEb
; %bb.0:
	s_clause 0x2
	s_load_b32 s2, s[0:1], 0x78
	s_load_b64 s[28:29], s[0:1], 0x50
	s_load_b256 s[20:27], s[0:1], 0x58
	s_wait_kmcnt 0x0
	s_bitcmp1_b32 s2, 0
	s_cselect_b32 s2, -1, 0
	s_cmp_eq_u32 s29, 0
	s_cselect_b32 s4, -1, 0
	s_cmp_lg_u32 s29, 0
	s_cselect_b32 s29, -1, 0
	s_or_b32 s6, s4, s2
	s_delay_alu instid0(SALU_CYCLE_1)
	s_xor_b32 s5, s6, -1
	s_and_b32 s2, s4, exec_lo
	s_cselect_b32 s3, 0, s25
	s_cselect_b32 s2, 0, s24
	s_cselect_b32 s30, 0, s22
	s_and_b32 vcc_lo, exec_lo, s6
	s_cbranch_vccnz .LBB2_2
; %bb.1:
	s_load_b32 s30, s[22:23], 0x0
	s_mov_b64 s[2:3], s[24:25]
.LBB2_2:
	s_delay_alu instid0(SALU_CYCLE_1)
	v_mov_b64_e32 v[2:3], s[2:3]
	v_cndmask_b32_e64 v1, 0, 1, s5
	s_and_not1_b32 vcc_lo, exec_lo, s5
	s_cbranch_vccnz .LBB2_4
; %bb.3:
	v_mov_b32_e32 v2, 0
	flat_load_b64 v[2:3], v2, s[24:25]
.LBB2_4:
	s_delay_alu instid0(VALU_DEP_1)
	v_cmp_ne_u32_e32 vcc_lo, 1, v1
	s_and_b32 s2, s4, exec_lo
	s_cselect_b32 s3, 0, s26
	s_cbranch_vccnz .LBB2_6
; %bb.5:
	s_load_b32 s3, s[26:27], 0x0
.LBB2_6:
	s_load_b32 s2, s[0:1], 0x0
	s_bfe_u32 s4, ttmp6, 0x4000c
	v_dual_lshlrev_b32 v1, 1, v0 :: v_dual_bitop2_b32 v12, 31, v0 bitop3:0x40
	s_add_co_i32 s4, s4, 1
	s_and_b32 s5, ttmp6, 15
	s_mul_i32 s4, ttmp9, s4
	s_getreg_b32 s6, hwreg(HW_REG_IB_STS2, 6, 4)
	s_add_co_i32 s5, s5, s4
	s_cmp_eq_u32 s6, 0
	v_and_b32_e32 v9, 0x1c0, v1
	v_dual_lshrrev_b32 v0, 5, v0 :: v_dual_mov_b32 v4, -1
	s_cselect_b32 s4, ttmp9, s5
	s_delay_alu instid0(SALU_CYCLE_1) | instskip(NEXT) | instid1(VALU_DEP_2)
	s_lshl_b32 s4, s4, 3
	v_lshl_or_b32 v5, v9, 2, 0x800
	s_delay_alu instid0(VALU_DEP_2) | instskip(NEXT) | instid1(VALU_DEP_2)
	v_and_or_b32 v0, 0x7fffff8, s4, v0
	v_lshl_or_b32 v1, v12, 2, v5
	s_wait_kmcnt 0x0
	s_delay_alu instid0(VALU_DEP_2)
	v_cmp_gt_i32_e32 vcc_lo, s2, v0
	ds_store_2addr_b32 v1, v4, v4 offset1:32
	s_wait_loadcnt_dscnt 0x0
	s_and_saveexec_b32 s2, vcc_lo
	s_cbranch_execz .LBB2_78
; %bb.7:
	s_load_b512 s[4:19], s[0:1], 0x8
	s_mov_b32 s2, exec_lo
	v_lshlrev_b32_e32 v13, 2, v9
	s_wait_kmcnt 0x0
	global_load_b32 v0, v0, s[14:15] scale_offset
	s_wait_loadcnt 0x0
	v_ashrrev_i32_e32 v1, 31, v0
	s_delay_alu instid0(VALU_DEP_1)
	v_lshl_add_u64 v[6:7], v[0:1], 2, s[4:5]
	global_load_b64 v[10:11], v[6:7], off
	global_load_b32 v4, v0, s[10:11] scale_offset
	s_wait_loadcnt 0x1
	s_wait_xcnt 0x1
	v_subrev_nc_u32_e32 v6, s28, v10
	v_subrev_nc_u32_e32 v7, s28, v11
	s_delay_alu instid0(VALU_DEP_2) | instskip(SKIP_1) | instid1(VALU_DEP_1)
	v_add_nc_u32_e32 v8, v6, v12
	s_wait_xcnt 0x0
	v_cmpx_lt_i32_e64 v8, v7
	s_cbranch_execz .LBB2_30
; %bb.8:
	v_mov_b32_e32 v9, -1
	s_mov_b32 s14, 0
	s_branch .LBB2_10
.LBB2_9:                                ;   in Loop: Header=BB2_10 Depth=1
	s_or_b32 exec_lo, exec_lo, s15
	v_add_nc_u32_e32 v8, 32, v8
	s_delay_alu instid0(VALU_DEP_1) | instskip(SKIP_1) | instid1(SALU_CYCLE_1)
	v_cmp_ge_i32_e32 vcc_lo, v8, v7
	s_or_b32 s14, vcc_lo, s14
	s_and_not1_b32 exec_lo, exec_lo, s14
	s_cbranch_execz .LBB2_30
.LBB2_10:                               ; =>This Loop Header: Depth=1
                                        ;     Child Loop BB2_19 Depth 2
	global_load_b32 v10, v8, s[6:7] scale_offset
	v_mov_b32_e32 v11, 64
	s_mov_b32 s15, 0
                                        ; implicit-def: $sgpr22
                                        ; implicit-def: $sgpr23
                                        ; implicit-def: $sgpr24
	s_wait_loadcnt 0x0
	v_mul_lo_u32 v15, v10, 39
	s_branch .LBB2_19
.LBB2_11:                               ;   in Loop: Header=BB2_19 Depth=2
	s_or_b32 exec_lo, exec_lo, s38
	s_delay_alu instid0(SALU_CYCLE_1)
	s_or_not1_b32 s36, s36, exec_lo
	s_or_not1_b32 s37, s37, exec_lo
.LBB2_12:                               ;   in Loop: Header=BB2_19 Depth=2
	s_or_b32 exec_lo, exec_lo, s35
	s_delay_alu instid0(SALU_CYCLE_1)
	s_and_b32 s36, s36, exec_lo
	s_or_not1_b32 s35, s37, exec_lo
.LBB2_13:                               ;   in Loop: Header=BB2_19 Depth=2
	s_or_b32 exec_lo, exec_lo, s34
	s_delay_alu instid0(SALU_CYCLE_1)
	s_or_not1_b32 s34, s36, exec_lo
	s_or_not1_b32 s35, s35, exec_lo
.LBB2_14:                               ;   in Loop: Header=BB2_19 Depth=2
	s_or_b32 exec_lo, exec_lo, s33
	s_delay_alu instid0(SALU_CYCLE_1)
	s_and_b32 s34, s34, exec_lo
	s_or_not1_b32 s33, s35, exec_lo
.LBB2_15:                               ;   in Loop: Header=BB2_19 Depth=2
	s_or_b32 exec_lo, exec_lo, s31
	s_delay_alu instid0(SALU_CYCLE_1)
	s_or_not1_b32 s31, s34, exec_lo
	s_or_not1_b32 s33, s33, exec_lo
.LBB2_16:                               ;   in Loop: Header=BB2_19 Depth=2
	s_or_b32 exec_lo, exec_lo, s27
	s_delay_alu instid0(SALU_CYCLE_1)
	s_and_b32 s31, s31, exec_lo
	s_or_not1_b32 s27, s33, exec_lo
.LBB2_17:                               ;   in Loop: Header=BB2_19 Depth=2
	s_or_b32 exec_lo, exec_lo, s26
	s_delay_alu instid0(SALU_CYCLE_1)
	s_and_not1_b32 s24, s24, exec_lo
	s_and_b32 s26, s31, exec_lo
	s_and_not1_b32 s23, s23, exec_lo
	s_and_b32 s27, s27, exec_lo
	s_or_b32 s24, s24, s26
	s_or_b32 s23, s23, s27
.LBB2_18:                               ;   in Loop: Header=BB2_19 Depth=2
	s_or_b32 exec_lo, exec_lo, s25
	s_delay_alu instid0(SALU_CYCLE_1) | instskip(NEXT) | instid1(SALU_CYCLE_1)
	s_and_b32 s25, exec_lo, s23
	s_or_b32 s15, s25, s15
	s_and_not1_b32 s22, s22, exec_lo
	s_and_b32 s25, s24, exec_lo
	s_delay_alu instid0(SALU_CYCLE_1)
	s_or_b32 s22, s22, s25
	s_and_not1_b32 exec_lo, exec_lo, s15
	s_cbranch_execz .LBB2_28
.LBB2_19:                               ;   Parent Loop BB2_10 Depth=1
                                        ; =>  This Inner Loop Header: Depth=2
	s_delay_alu instid0(VALU_DEP_1) | instskip(SKIP_3) | instid1(VALU_DEP_1)
	v_and_b32_e32 v14, 63, v15
	s_or_b32 s24, s24, exec_lo
	s_or_b32 s23, s23, exec_lo
	s_mov_b32 s25, exec_lo
	v_lshl_add_u32 v16, v14, 2, v5
	ds_load_b32 v17, v16
	s_wait_dscnt 0x0
	s_wait_xcnt 0x0
	v_cmpx_ne_u32_e64 v17, v10
	s_cbranch_execz .LBB2_18
; %bb.20:                               ;   in Loop: Header=BB2_19 Depth=2
	ds_cmpstore_rtn_b32 v16, v16, v10, v9
	s_mov_b32 s27, -1
	s_mov_b32 s31, 0
	s_mov_b32 s26, exec_lo
	s_wait_dscnt 0x0
	v_cmpx_ne_u32_e32 -1, v16
	s_cbranch_execz .LBB2_17
; %bb.21:                               ;   in Loop: Header=BB2_19 Depth=2
	v_add_nc_u32_e32 v14, 1, v15
	s_mov_b32 s33, -1
	s_mov_b32 s31, -1
	s_mov_b32 s27, exec_lo
	s_delay_alu instid0(VALU_DEP_1) | instskip(NEXT) | instid1(VALU_DEP_1)
	v_and_b32_e32 v14, 63, v14
	v_lshl_add_u32 v16, v14, 2, v5
	ds_load_b32 v17, v16
	s_wait_dscnt 0x0
	v_cmpx_ne_u32_e64 v17, v10
	s_cbranch_execz .LBB2_16
; %bb.22:                               ;   in Loop: Header=BB2_19 Depth=2
	ds_cmpstore_rtn_b32 v16, v16, v10, v9
	s_mov_b32 s34, 0
	s_mov_b32 s31, exec_lo
	s_wait_dscnt 0x0
	v_cmpx_ne_u32_e32 -1, v16
	s_cbranch_execz .LBB2_15
; %bb.23:                               ;   in Loop: Header=BB2_19 Depth=2
	v_add_nc_u32_e32 v14, 2, v15
	s_mov_b32 s35, -1
	s_mov_b32 s34, -1
	s_mov_b32 s33, exec_lo
	s_delay_alu instid0(VALU_DEP_1) | instskip(NEXT) | instid1(VALU_DEP_1)
	v_and_b32_e32 v14, 63, v14
	v_lshl_add_u32 v16, v14, 2, v5
	ds_load_b32 v17, v16
	s_wait_dscnt 0x0
	v_cmpx_ne_u32_e64 v17, v10
	s_cbranch_execz .LBB2_14
; %bb.24:                               ;   in Loop: Header=BB2_19 Depth=2
	ds_cmpstore_rtn_b32 v16, v16, v10, v9
	s_mov_b32 s36, 0
	s_mov_b32 s34, exec_lo
	s_wait_dscnt 0x0
	v_cmpx_ne_u32_e32 -1, v16
	s_cbranch_execz .LBB2_13
; %bb.25:                               ;   in Loop: Header=BB2_19 Depth=2
	v_add_nc_u32_e32 v14, 3, v15
	s_mov_b32 s37, -1
	s_mov_b32 s36, -1
	s_delay_alu instid0(VALU_DEP_1) | instskip(NEXT) | instid1(VALU_DEP_1)
	v_and_b32_e32 v14, 63, v14
	v_lshl_add_u32 v16, v14, 2, v5
	ds_load_b32 v15, v16
	s_wait_dscnt 0x0
	v_cmp_ne_u32_e32 vcc_lo, v15, v10
                                        ; implicit-def: $vgpr15
	s_and_saveexec_b32 s35, vcc_lo
	s_cbranch_execz .LBB2_12
; %bb.26:                               ;   in Loop: Header=BB2_19 Depth=2
	ds_cmpstore_rtn_b32 v15, v16, v10, v9
	s_mov_b32 s36, 0
	s_wait_dscnt 0x0
	v_cmp_ne_u32_e32 vcc_lo, -1, v15
                                        ; implicit-def: $vgpr15
	s_and_saveexec_b32 s38, vcc_lo
	s_cbranch_execz .LBB2_11
; %bb.27:                               ;   in Loop: Header=BB2_19 Depth=2
	v_dual_add_nc_u32 v11, -4, v11 :: v_dual_add_nc_u32 v15, 1, v14
	s_mov_b32 s36, exec_lo
	s_delay_alu instid0(VALU_DEP_1)
	v_cmp_eq_u32_e32 vcc_lo, 0, v11
	s_or_not1_b32 s37, vcc_lo, exec_lo
	s_branch .LBB2_11
.LBB2_28:                               ;   in Loop: Header=BB2_10 Depth=1
	s_or_b32 exec_lo, exec_lo, s15
	s_xor_b32 s15, s22, -1
	s_delay_alu instid0(SALU_CYCLE_1) | instskip(NEXT) | instid1(SALU_CYCLE_1)
	s_and_saveexec_b32 s22, s15
	s_xor_b32 s15, exec_lo, s22
	s_cbranch_execz .LBB2_9
; %bb.29:                               ;   in Loop: Header=BB2_10 Depth=1
	v_lshl_add_u32 v10, v14, 2, v13
	ds_store_b32 v10, v8
	s_branch .LBB2_9
.LBB2_30:
	s_or_b32 exec_lo, exec_lo, s2
	s_delay_alu instid0(SALU_CYCLE_1)
	s_mov_b32 s2, exec_lo
	s_wait_loadcnt_dscnt 0x0
	v_cmpx_lt_i32_e64 v6, v4
	s_cbranch_execz .LBB2_60
; %bb.31:
	v_add_nc_u32_e32 v14, 1, v12
	s_mov_b32 s14, 0
	s_branch .LBB2_34
.LBB2_32:                               ;   in Loop: Header=BB2_34 Depth=1
	s_or_b32 exec_lo, exec_lo, s22
	v_add_nc_u32_e32 v6, 1, v6
	s_delay_alu instid0(VALU_DEP_1)
	v_cmp_ge_i32_e32 vcc_lo, v6, v4
	s_or_not1_b32 s22, vcc_lo, exec_lo
.LBB2_33:                               ;   in Loop: Header=BB2_34 Depth=1
	s_or_b32 exec_lo, exec_lo, s15
	s_delay_alu instid0(SALU_CYCLE_1) | instskip(NEXT) | instid1(SALU_CYCLE_1)
	s_and_b32 s15, exec_lo, s22
	s_or_b32 s14, s15, s14
	s_delay_alu instid0(SALU_CYCLE_1)
	s_and_not1_b32 exec_lo, exec_lo, s14
	s_cbranch_execz .LBB2_60
.LBB2_34:                               ; =>This Loop Header: Depth=1
                                        ;     Child Loop BB2_35 Depth 2
                                        ;     Child Loop BB2_40 Depth 2
                                        ;       Child Loop BB2_49 Depth 3
	s_clause 0x1
	global_load_b32 v7, v6, s[6:7] scale_offset
	global_load_b32 v15, v6, s[8:9] scale_offset
	s_mov_b32 s15, 0
	s_wait_loadcnt 0x1
	v_subrev_nc_u32_e32 v8, s28, v7
	v_ashrrev_i32_e32 v7, 31, v6
	s_clause 0x1
	global_load_b32 v17, v8, s[4:5] offset:4 scale_offset
	global_load_b32 v16, v8, s[10:11] scale_offset
	v_ashrrev_i32_e32 v9, 31, v8
	v_lshl_add_u64 v[10:11], v[6:7], 2, s[8:9]
	s_wait_xcnt 0x0
	s_delay_alu instid0(VALU_DEP_2)
	v_lshl_add_u64 v[8:9], v[8:9], 2, s[12:13]
.LBB2_35:                               ;   Parent Loop BB2_34 Depth=1
                                        ; =>  This Inner Loop Header: Depth=2
	global_load_b32 v7, v[8:9], off scope:SCOPE_DEV
	s_wait_loadcnt 0x0
	v_cmp_ne_u32_e32 vcc_lo, 0, v7
	s_or_b32 s15, vcc_lo, s15
	s_wait_xcnt 0x0
	s_and_not1_b32 exec_lo, exec_lo, s15
	s_cbranch_execnz .LBB2_35
; %bb.36:                               ;   in Loop: Header=BB2_34 Depth=1
	s_or_b32 exec_lo, exec_lo, s15
	v_subrev_nc_u32_e32 v7, s28, v17
	v_cmp_eq_u32_e32 vcc_lo, -1, v16
	global_inv scope:SCOPE_DEV
	s_mov_b32 s22, -1
	s_mov_b32 s15, exec_lo
	v_add_nc_u32_e32 v8, -1, v7
	s_delay_alu instid0(VALU_DEP_1)
	v_cndmask_b32_e32 v8, v16, v8, vcc_lo
	global_load_b32 v9, v8, s[8:9] scale_offset
	s_wait_loadcnt 0x0
	s_wait_xcnt 0x0
	v_cmpx_neq_f32_e32 0, v9
	s_cbranch_execz .LBB2_33
; %bb.37:                               ;   in Loop: Header=BB2_34 Depth=1
	v_div_scale_f32 v16, null, v9, v9, v15
	s_mov_b32 s22, exec_lo
	v_add_nc_u32_e32 v8, v14, v8
	v_rcp_f32_e32 v17, v16
	v_nop
	s_delay_alu instid0(TRANS32_DEP_1) | instskip(NEXT) | instid1(VALU_DEP_1)
	v_fma_f32 v18, -v16, v17, 1.0
	v_fmac_f32_e32 v17, v18, v17
	v_div_scale_f32 v18, vcc_lo, v15, v9, v15
	s_delay_alu instid0(VALU_DEP_1) | instskip(NEXT) | instid1(VALU_DEP_1)
	v_mul_f32_e32 v19, v18, v17
	v_fma_f32 v20, -v16, v19, v18
	s_delay_alu instid0(VALU_DEP_1) | instskip(NEXT) | instid1(VALU_DEP_1)
	v_fmac_f32_e32 v19, v20, v17
	v_fma_f32 v16, -v16, v19, v18
	s_delay_alu instid0(VALU_DEP_1) | instskip(NEXT) | instid1(VALU_DEP_1)
	v_div_fmas_f32 v16, v16, v17, v19
	v_div_fixup_f32 v15, v16, v9, v15
	global_store_b32 v[10:11], v15, off
	s_wait_xcnt 0x0
	v_cmpx_lt_i32_e64 v8, v7
	s_cbranch_execz .LBB2_32
; %bb.38:                               ;   in Loop: Header=BB2_34 Depth=1
	s_mov_b32 s23, 0
	s_branch .LBB2_40
.LBB2_39:                               ;   in Loop: Header=BB2_40 Depth=2
	s_wait_xcnt 0x0
	s_or_b32 exec_lo, exec_lo, s24
	v_add_nc_u32_e32 v8, 32, v8
	s_delay_alu instid0(VALU_DEP_1) | instskip(SKIP_1) | instid1(SALU_CYCLE_1)
	v_cmp_ge_i32_e32 vcc_lo, v8, v7
	s_or_b32 s23, vcc_lo, s23
	s_and_not1_b32 exec_lo, exec_lo, s23
	s_cbranch_execz .LBB2_32
.LBB2_40:                               ;   Parent Loop BB2_34 Depth=1
                                        ; =>  This Loop Header: Depth=2
                                        ;       Child Loop BB2_49 Depth 3
	global_load_b32 v10, v8, s[6:7] scale_offset
	v_dual_ashrrev_i32 v9, 31, v8 :: v_dual_mov_b32 v11, 64
	s_mov_b32 s24, 0
                                        ; implicit-def: $sgpr25
                                        ; implicit-def: $sgpr26
                                        ; implicit-def: $sgpr27
	s_wait_loadcnt 0x0
	v_mul_lo_u32 v17, v10, 39
	s_branch .LBB2_49
.LBB2_41:                               ;   in Loop: Header=BB2_49 Depth=3
	s_or_b32 exec_lo, exec_lo, s41
	s_delay_alu instid0(SALU_CYCLE_1)
	s_or_not1_b32 s39, s39, exec_lo
	s_or_not1_b32 s40, s40, exec_lo
.LBB2_42:                               ;   in Loop: Header=BB2_49 Depth=3
	s_or_b32 exec_lo, exec_lo, s38
	s_delay_alu instid0(SALU_CYCLE_1)
	s_and_b32 s39, s39, exec_lo
	s_or_not1_b32 s38, s40, exec_lo
.LBB2_43:                               ;   in Loop: Header=BB2_49 Depth=3
	s_or_b32 exec_lo, exec_lo, s37
	s_delay_alu instid0(SALU_CYCLE_1)
	s_or_not1_b32 s37, s39, exec_lo
	s_or_not1_b32 s38, s38, exec_lo
.LBB2_44:                               ;   in Loop: Header=BB2_49 Depth=3
	s_or_b32 exec_lo, exec_lo, s36
	s_delay_alu instid0(SALU_CYCLE_1)
	s_and_b32 s37, s37, exec_lo
	s_or_not1_b32 s36, s38, exec_lo
.LBB2_45:                               ;   in Loop: Header=BB2_49 Depth=3
	s_or_b32 exec_lo, exec_lo, s35
	s_delay_alu instid0(SALU_CYCLE_1)
	s_or_not1_b32 s35, s37, exec_lo
	s_or_not1_b32 s36, s36, exec_lo
.LBB2_46:                               ;   in Loop: Header=BB2_49 Depth=3
	s_or_b32 exec_lo, exec_lo, s34
	s_delay_alu instid0(SALU_CYCLE_1)
	s_and_b32 s35, s35, exec_lo
	s_or_not1_b32 s34, s36, exec_lo
.LBB2_47:                               ;   in Loop: Header=BB2_49 Depth=3
	s_or_b32 exec_lo, exec_lo, s33
	s_delay_alu instid0(SALU_CYCLE_1)
	s_and_not1_b32 s27, s27, exec_lo
	s_and_b32 s33, s35, exec_lo
	s_and_not1_b32 s26, s26, exec_lo
	s_and_b32 s34, s34, exec_lo
	s_or_b32 s27, s27, s33
	s_or_b32 s26, s26, s34
.LBB2_48:                               ;   in Loop: Header=BB2_49 Depth=3
	s_or_b32 exec_lo, exec_lo, s31
	s_delay_alu instid0(SALU_CYCLE_1) | instskip(NEXT) | instid1(SALU_CYCLE_1)
	s_and_b32 s31, exec_lo, s26
	s_or_b32 s24, s31, s24
	s_and_not1_b32 s25, s25, exec_lo
	s_and_b32 s31, s27, exec_lo
	s_delay_alu instid0(SALU_CYCLE_1)
	s_or_b32 s25, s25, s31
	s_and_not1_b32 exec_lo, exec_lo, s24
	s_cbranch_execz .LBB2_58
.LBB2_49:                               ;   Parent Loop BB2_34 Depth=1
                                        ;     Parent Loop BB2_40 Depth=2
                                        ; =>    This Inner Loop Header: Depth=3
	s_delay_alu instid0(VALU_DEP_1) | instskip(SKIP_3) | instid1(VALU_DEP_1)
	v_and_b32_e32 v16, 63, v17
	s_or_b32 s27, s27, exec_lo
	s_or_b32 s26, s26, exec_lo
	s_mov_b32 s31, exec_lo
	v_lshl_add_u32 v18, v16, 2, v5
	ds_load_b32 v18, v18
	s_wait_dscnt 0x0
	s_wait_xcnt 0x0
	v_cmpx_ne_u32_e32 -1, v18
	s_cbranch_execz .LBB2_48
; %bb.50:                               ;   in Loop: Header=BB2_49 Depth=3
	s_mov_b32 s34, -1
	s_mov_b32 s35, 0
	s_mov_b32 s33, exec_lo
	v_cmpx_ne_u32_e64 v18, v10
	s_cbranch_execz .LBB2_47
; %bb.51:                               ;   in Loop: Header=BB2_49 Depth=3
	v_add_nc_u32_e32 v16, 1, v17
	s_mov_b32 s36, -1
	s_mov_b32 s35, -1
	s_mov_b32 s34, exec_lo
	s_delay_alu instid0(VALU_DEP_1) | instskip(NEXT) | instid1(VALU_DEP_1)
	v_and_b32_e32 v16, 63, v16
	v_lshl_add_u32 v18, v16, 2, v5
	ds_load_b32 v18, v18
	s_wait_dscnt 0x0
	v_cmpx_ne_u32_e32 -1, v18
	s_cbranch_execz .LBB2_46
; %bb.52:                               ;   in Loop: Header=BB2_49 Depth=3
	s_mov_b32 s37, 0
	s_mov_b32 s35, exec_lo
	v_cmpx_ne_u32_e64 v18, v10
	s_cbranch_execz .LBB2_45
; %bb.53:                               ;   in Loop: Header=BB2_49 Depth=3
	v_add_nc_u32_e32 v16, 2, v17
	s_mov_b32 s38, -1
	s_mov_b32 s37, -1
	s_mov_b32 s36, exec_lo
	s_delay_alu instid0(VALU_DEP_1) | instskip(NEXT) | instid1(VALU_DEP_1)
	v_and_b32_e32 v16, 63, v16
	v_lshl_add_u32 v18, v16, 2, v5
	ds_load_b32 v18, v18
	s_wait_dscnt 0x0
	v_cmpx_ne_u32_e32 -1, v18
	s_cbranch_execz .LBB2_44
; %bb.54:                               ;   in Loop: Header=BB2_49 Depth=3
	s_mov_b32 s39, 0
	s_mov_b32 s37, exec_lo
	v_cmpx_ne_u32_e64 v18, v10
	s_cbranch_execz .LBB2_43
; %bb.55:                               ;   in Loop: Header=BB2_49 Depth=3
	v_add_nc_u32_e32 v16, 3, v17
	s_mov_b32 s40, -1
	s_mov_b32 s39, -1
	s_mov_b32 s38, exec_lo
	s_delay_alu instid0(VALU_DEP_1) | instskip(NEXT) | instid1(VALU_DEP_1)
	v_and_b32_e32 v16, 63, v16
	v_lshl_add_u32 v17, v16, 2, v5
	ds_load_b32 v18, v17
                                        ; implicit-def: $vgpr17
	s_wait_dscnt 0x0
	v_cmpx_ne_u32_e32 -1, v18
	s_cbranch_execz .LBB2_42
; %bb.56:                               ;   in Loop: Header=BB2_49 Depth=3
	s_mov_b32 s39, 0
	s_mov_b32 s41, exec_lo
                                        ; implicit-def: $vgpr17
	v_cmpx_ne_u32_e64 v18, v10
	s_cbranch_execz .LBB2_41
; %bb.57:                               ;   in Loop: Header=BB2_49 Depth=3
	v_dual_add_nc_u32 v11, -4, v11 :: v_dual_add_nc_u32 v17, 1, v16
	s_mov_b32 s39, exec_lo
	s_delay_alu instid0(VALU_DEP_1)
	v_cmp_eq_u32_e32 vcc_lo, 0, v11
	s_or_not1_b32 s40, vcc_lo, exec_lo
	s_branch .LBB2_41
.LBB2_58:                               ;   in Loop: Header=BB2_40 Depth=2
	s_or_b32 exec_lo, exec_lo, s24
	s_xor_b32 s24, s25, -1
	s_delay_alu instid0(SALU_CYCLE_1) | instskip(NEXT) | instid1(SALU_CYCLE_1)
	s_and_saveexec_b32 s25, s24
	s_xor_b32 s24, exec_lo, s25
	s_cbranch_execz .LBB2_39
; %bb.59:                               ;   in Loop: Header=BB2_40 Depth=2
	v_lshl_add_u32 v10, v16, 2, v13
	ds_load_b32 v16, v10
	v_lshl_add_u64 v[10:11], v[8:9], 2, s[8:9]
	global_load_b32 v9, v[10:11], off
	s_wait_dscnt 0x0
	global_load_b32 v17, v16, s[8:9] scale_offset
	s_wait_loadcnt 0x0
	v_fma_f32 v9, -v15, v9, v17
	global_store_b32 v16, v9, s[8:9] scale_offset
	s_branch .LBB2_39
.LBB2_60:
	s_or_b32 exec_lo, exec_lo, s2
	s_mov_b32 s5, -1
	s_mov_b32 s4, exec_lo
	s_wait_storecnt 0x0
	v_cmpx_lt_i32_e32 -1, v4
	s_cbranch_execz .LBB2_76
; %bb.61:
	global_load_b32 v8, v4, s[8:9] scale_offset
	v_cmp_eq_u32_e64 s2, 0, v12
	s_wait_loadcnt 0x0
	v_cmp_gt_f32_e32 vcc_lo, 0, v8
	v_cndmask_b32_e64 v5, v8, -v8, vcc_lo
	s_and_not1_b32 vcc_lo, exec_lo, s29
	s_delay_alu instid0(VALU_DEP_1)
	v_cvt_f64_f32_e32 v[6:7], v5
	s_cbranch_vccnz .LBB2_65
; %bb.62:
	v_cvt_f64_f32_e32 v[10:11], s30
	s_cmp_eq_u64 s[20:21], 8
	s_cselect_b32 vcc_lo, -1, 0
	s_delay_alu instid0(VALU_DEP_1) | instskip(NEXT) | instid1(VALU_DEP_1)
	v_dual_cndmask_b32 v3, v11, v3 :: v_dual_cndmask_b32 v2, v10, v2
	v_cmp_ge_f64_e32 vcc_lo, v[2:3], v[6:7]
	s_and_b32 s6, s2, vcc_lo
	s_delay_alu instid0(SALU_CYCLE_1)
	s_and_saveexec_b32 s5, s6
	s_cbranch_execz .LBB2_64
; %bb.63:
	v_dual_mov_b32 v5, 0 :: v_dual_mov_b32 v9, s3
	s_delay_alu instid0(VALU_DEP_1)
	v_lshl_add_u64 v[2:3], v[4:5], 2, s[8:9]
	global_store_b32 v[2:3], v9, off
	global_wb scope:SCOPE_DEV
	s_wait_storecnt 0x0
	global_inv scope:SCOPE_DEV
.LBB2_64:
	s_wait_xcnt 0x0
	s_or_b32 exec_lo, exec_lo, s5
	s_mov_b32 s5, 0
.LBB2_65:
	s_delay_alu instid0(SALU_CYCLE_1)
	s_and_not1_b32 vcc_lo, exec_lo, s5
	s_cbranch_vccnz .LBB2_76
; %bb.66:
	s_load_b64 s[0:1], s[0:1], 0x48
	v_add_nc_u32_e32 v2, s28, v0
	s_wait_kmcnt 0x0
	s_delay_alu instid0(VALU_DEP_2) | instskip(SKIP_1) | instid1(SALU_CYCLE_1)
	v_cmp_ge_f64_e32 vcc_lo, s[0:1], v[6:7]
	s_and_b32 s1, s2, vcc_lo
	s_and_saveexec_b32 s0, s1
	s_cbranch_execz .LBB2_71
; %bb.67:
	s_mov_b32 s3, exec_lo
	s_brev_b32 s1, -2
.LBB2_68:                               ; =>This Inner Loop Header: Depth=1
	s_ctz_i32_b32 s5, s3
	s_delay_alu instid0(SALU_CYCLE_1) | instskip(SKIP_1) | instid1(SALU_CYCLE_1)
	v_readlane_b32 s6, v2, s5
	s_lshl_b32 s5, 1, s5
	s_and_not1_b32 s3, s3, s5
	s_min_i32 s1, s1, s6
	s_cmp_lg_u32 s3, 0
	s_cbranch_scc1 .LBB2_68
; %bb.69:
	v_mbcnt_lo_u32_b32 v3, exec_lo, 0
	s_mov_b32 s3, exec_lo
	s_delay_alu instid0(VALU_DEP_1)
	v_cmpx_eq_u32_e32 0, v3
	s_xor_b32 s3, exec_lo, s3
	s_cbranch_execz .LBB2_71
; %bb.70:
	v_dual_mov_b32 v3, 0 :: v_dual_mov_b32 v4, s1
	global_atomic_min_i32 v3, v4, s[18:19] scope:SCOPE_DEV
.LBB2_71:
	s_wait_xcnt 0x0
	s_or_b32 exec_lo, exec_lo, s0
	v_cmp_eq_f32_e32 vcc_lo, 0, v8
	s_and_b32 s0, s2, vcc_lo
	s_delay_alu instid0(SALU_CYCLE_1)
	s_and_b32 exec_lo, exec_lo, s0
	s_cbranch_execz .LBB2_76
; %bb.72:
	s_mov_b32 s1, exec_lo
	s_brev_b32 s0, -2
.LBB2_73:                               ; =>This Inner Loop Header: Depth=1
	s_ctz_i32_b32 s2, s1
	s_delay_alu instid0(SALU_CYCLE_1) | instskip(SKIP_1) | instid1(SALU_CYCLE_1)
	v_readlane_b32 s3, v2, s2
	s_lshl_b32 s2, 1, s2
	s_and_not1_b32 s1, s1, s2
	s_min_i32 s0, s0, s3
	s_cmp_lg_u32 s1, 0
	s_cbranch_scc1 .LBB2_73
; %bb.74:
	v_mbcnt_lo_u32_b32 v2, exec_lo, 0
	s_mov_b32 s1, exec_lo
	s_delay_alu instid0(VALU_DEP_1)
	v_cmpx_eq_u32_e32 0, v2
	s_xor_b32 s1, exec_lo, s1
	s_cbranch_execz .LBB2_76
; %bb.75:
	v_dual_mov_b32 v2, 0 :: v_dual_mov_b32 v3, s0
	global_atomic_min_i32 v2, v3, s[16:17] scope:SCOPE_DEV
.LBB2_76:
	s_wait_xcnt 0x0
	s_or_b32 exec_lo, exec_lo, s4
	v_cmp_eq_u32_e32 vcc_lo, 0, v12
	global_wb scope:SCOPE_DEV
	s_wait_loadcnt 0x0
	s_wait_storecnt 0x0
	global_inv scope:SCOPE_DEV
	s_and_b32 exec_lo, exec_lo, vcc_lo
	s_cbranch_execz .LBB2_78
; %bb.77:
	v_lshl_add_u64 v[0:1], v[0:1], 2, s[12:13]
	v_mov_b32_e32 v2, 1
	global_wb scope:SCOPE_DEV
	s_wait_loadcnt 0x0
	s_wait_storecnt 0x0
	global_store_b32 v[0:1], v2, off scope:SCOPE_DEV
.LBB2_78:
	s_endpgm
	.section	.rodata,"a",@progbits
	.p2align	6, 0x0
	.amdhsa_kernel _ZN9rocsparseL12csrilu0_hashILj256ELj32ELj2EfEEviPKiS2_PT2_S2_PiS2_S5_S5_d21rocsparse_index_base_imNS_24const_host_device_scalarIfEENS7_IdEENS7_IS3_EEb
		.amdhsa_group_segment_fixed_size 4096
		.amdhsa_private_segment_fixed_size 0
		.amdhsa_kernarg_size 124
		.amdhsa_user_sgpr_count 2
		.amdhsa_user_sgpr_dispatch_ptr 0
		.amdhsa_user_sgpr_queue_ptr 0
		.amdhsa_user_sgpr_kernarg_segment_ptr 1
		.amdhsa_user_sgpr_dispatch_id 0
		.amdhsa_user_sgpr_kernarg_preload_length 0
		.amdhsa_user_sgpr_kernarg_preload_offset 0
		.amdhsa_user_sgpr_private_segment_size 0
		.amdhsa_wavefront_size32 1
		.amdhsa_uses_dynamic_stack 0
		.amdhsa_enable_private_segment 0
		.amdhsa_system_sgpr_workgroup_id_x 1
		.amdhsa_system_sgpr_workgroup_id_y 0
		.amdhsa_system_sgpr_workgroup_id_z 0
		.amdhsa_system_sgpr_workgroup_info 0
		.amdhsa_system_vgpr_workitem_id 0
		.amdhsa_next_free_vgpr 21
		.amdhsa_next_free_sgpr 42
		.amdhsa_named_barrier_count 0
		.amdhsa_reserve_vcc 1
		.amdhsa_float_round_mode_32 0
		.amdhsa_float_round_mode_16_64 0
		.amdhsa_float_denorm_mode_32 3
		.amdhsa_float_denorm_mode_16_64 3
		.amdhsa_fp16_overflow 0
		.amdhsa_memory_ordered 1
		.amdhsa_forward_progress 1
		.amdhsa_inst_pref_size 22
		.amdhsa_round_robin_scheduling 0
		.amdhsa_exception_fp_ieee_invalid_op 0
		.amdhsa_exception_fp_denorm_src 0
		.amdhsa_exception_fp_ieee_div_zero 0
		.amdhsa_exception_fp_ieee_overflow 0
		.amdhsa_exception_fp_ieee_underflow 0
		.amdhsa_exception_fp_ieee_inexact 0
		.amdhsa_exception_int_div_zero 0
	.end_amdhsa_kernel
	.section	.text._ZN9rocsparseL12csrilu0_hashILj256ELj32ELj2EfEEviPKiS2_PT2_S2_PiS2_S5_S5_d21rocsparse_index_base_imNS_24const_host_device_scalarIfEENS7_IdEENS7_IS3_EEb,"axG",@progbits,_ZN9rocsparseL12csrilu0_hashILj256ELj32ELj2EfEEviPKiS2_PT2_S2_PiS2_S5_S5_d21rocsparse_index_base_imNS_24const_host_device_scalarIfEENS7_IdEENS7_IS3_EEb,comdat
.Lfunc_end2:
	.size	_ZN9rocsparseL12csrilu0_hashILj256ELj32ELj2EfEEviPKiS2_PT2_S2_PiS2_S5_S5_d21rocsparse_index_base_imNS_24const_host_device_scalarIfEENS7_IdEENS7_IS3_EEb, .Lfunc_end2-_ZN9rocsparseL12csrilu0_hashILj256ELj32ELj2EfEEviPKiS2_PT2_S2_PiS2_S5_S5_d21rocsparse_index_base_imNS_24const_host_device_scalarIfEENS7_IdEENS7_IS3_EEb
                                        ; -- End function
	.set _ZN9rocsparseL12csrilu0_hashILj256ELj32ELj2EfEEviPKiS2_PT2_S2_PiS2_S5_S5_d21rocsparse_index_base_imNS_24const_host_device_scalarIfEENS7_IdEENS7_IS3_EEb.num_vgpr, 21
	.set _ZN9rocsparseL12csrilu0_hashILj256ELj32ELj2EfEEviPKiS2_PT2_S2_PiS2_S5_S5_d21rocsparse_index_base_imNS_24const_host_device_scalarIfEENS7_IdEENS7_IS3_EEb.num_agpr, 0
	.set _ZN9rocsparseL12csrilu0_hashILj256ELj32ELj2EfEEviPKiS2_PT2_S2_PiS2_S5_S5_d21rocsparse_index_base_imNS_24const_host_device_scalarIfEENS7_IdEENS7_IS3_EEb.numbered_sgpr, 42
	.set _ZN9rocsparseL12csrilu0_hashILj256ELj32ELj2EfEEviPKiS2_PT2_S2_PiS2_S5_S5_d21rocsparse_index_base_imNS_24const_host_device_scalarIfEENS7_IdEENS7_IS3_EEb.num_named_barrier, 0
	.set _ZN9rocsparseL12csrilu0_hashILj256ELj32ELj2EfEEviPKiS2_PT2_S2_PiS2_S5_S5_d21rocsparse_index_base_imNS_24const_host_device_scalarIfEENS7_IdEENS7_IS3_EEb.private_seg_size, 0
	.set _ZN9rocsparseL12csrilu0_hashILj256ELj32ELj2EfEEviPKiS2_PT2_S2_PiS2_S5_S5_d21rocsparse_index_base_imNS_24const_host_device_scalarIfEENS7_IdEENS7_IS3_EEb.uses_vcc, 1
	.set _ZN9rocsparseL12csrilu0_hashILj256ELj32ELj2EfEEviPKiS2_PT2_S2_PiS2_S5_S5_d21rocsparse_index_base_imNS_24const_host_device_scalarIfEENS7_IdEENS7_IS3_EEb.uses_flat_scratch, 0
	.set _ZN9rocsparseL12csrilu0_hashILj256ELj32ELj2EfEEviPKiS2_PT2_S2_PiS2_S5_S5_d21rocsparse_index_base_imNS_24const_host_device_scalarIfEENS7_IdEENS7_IS3_EEb.has_dyn_sized_stack, 0
	.set _ZN9rocsparseL12csrilu0_hashILj256ELj32ELj2EfEEviPKiS2_PT2_S2_PiS2_S5_S5_d21rocsparse_index_base_imNS_24const_host_device_scalarIfEENS7_IdEENS7_IS3_EEb.has_recursion, 0
	.set _ZN9rocsparseL12csrilu0_hashILj256ELj32ELj2EfEEviPKiS2_PT2_S2_PiS2_S5_S5_d21rocsparse_index_base_imNS_24const_host_device_scalarIfEENS7_IdEENS7_IS3_EEb.has_indirect_call, 0
	.section	.AMDGPU.csdata,"",@progbits
; Kernel info:
; codeLenInByte = 2756
; TotalNumSgprs: 44
; NumVgprs: 21
; ScratchSize: 0
; MemoryBound: 0
; FloatMode: 240
; IeeeMode: 1
; LDSByteSize: 4096 bytes/workgroup (compile time only)
; SGPRBlocks: 0
; VGPRBlocks: 1
; NumSGPRsForWavesPerEU: 44
; NumVGPRsForWavesPerEU: 21
; NamedBarCnt: 0
; Occupancy: 16
; WaveLimiterHint : 1
; COMPUTE_PGM_RSRC2:SCRATCH_EN: 0
; COMPUTE_PGM_RSRC2:USER_SGPR: 2
; COMPUTE_PGM_RSRC2:TRAP_HANDLER: 0
; COMPUTE_PGM_RSRC2:TGID_X_EN: 1
; COMPUTE_PGM_RSRC2:TGID_Y_EN: 0
; COMPUTE_PGM_RSRC2:TGID_Z_EN: 0
; COMPUTE_PGM_RSRC2:TIDIG_COMP_CNT: 0
	.section	.text._ZN9rocsparseL12csrilu0_hashILj256ELj32ELj4EfEEviPKiS2_PT2_S2_PiS2_S5_S5_d21rocsparse_index_base_imNS_24const_host_device_scalarIfEENS7_IdEENS7_IS3_EEb,"axG",@progbits,_ZN9rocsparseL12csrilu0_hashILj256ELj32ELj4EfEEviPKiS2_PT2_S2_PiS2_S5_S5_d21rocsparse_index_base_imNS_24const_host_device_scalarIfEENS7_IdEENS7_IS3_EEb,comdat
	.globl	_ZN9rocsparseL12csrilu0_hashILj256ELj32ELj4EfEEviPKiS2_PT2_S2_PiS2_S5_S5_d21rocsparse_index_base_imNS_24const_host_device_scalarIfEENS7_IdEENS7_IS3_EEb ; -- Begin function _ZN9rocsparseL12csrilu0_hashILj256ELj32ELj4EfEEviPKiS2_PT2_S2_PiS2_S5_S5_d21rocsparse_index_base_imNS_24const_host_device_scalarIfEENS7_IdEENS7_IS3_EEb
	.p2align	8
	.type	_ZN9rocsparseL12csrilu0_hashILj256ELj32ELj4EfEEviPKiS2_PT2_S2_PiS2_S5_S5_d21rocsparse_index_base_imNS_24const_host_device_scalarIfEENS7_IdEENS7_IS3_EEb,@function
_ZN9rocsparseL12csrilu0_hashILj256ELj32ELj4EfEEviPKiS2_PT2_S2_PiS2_S5_S5_d21rocsparse_index_base_imNS_24const_host_device_scalarIfEENS7_IdEENS7_IS3_EEb: ; @_ZN9rocsparseL12csrilu0_hashILj256ELj32ELj4EfEEviPKiS2_PT2_S2_PiS2_S5_S5_d21rocsparse_index_base_imNS_24const_host_device_scalarIfEENS7_IdEENS7_IS3_EEb
; %bb.0:
	s_clause 0x2
	s_load_b32 s2, s[0:1], 0x78
	s_load_b64 s[28:29], s[0:1], 0x50
	s_load_b256 s[20:27], s[0:1], 0x58
	s_wait_kmcnt 0x0
	s_bitcmp1_b32 s2, 0
	s_cselect_b32 s2, -1, 0
	s_cmp_eq_u32 s29, 0
	s_cselect_b32 s4, -1, 0
	s_cmp_lg_u32 s29, 0
	s_cselect_b32 s29, -1, 0
	s_or_b32 s6, s4, s2
	s_delay_alu instid0(SALU_CYCLE_1)
	s_xor_b32 s5, s6, -1
	s_and_b32 s2, s4, exec_lo
	s_cselect_b32 s3, 0, s25
	s_cselect_b32 s2, 0, s24
	;; [unrolled: 1-line block ×3, first 2 shown]
	s_and_b32 vcc_lo, exec_lo, s6
	s_cbranch_vccnz .LBB3_2
; %bb.1:
	s_load_b32 s30, s[22:23], 0x0
	s_mov_b64 s[2:3], s[24:25]
.LBB3_2:
	s_delay_alu instid0(SALU_CYCLE_1)
	v_mov_b64_e32 v[2:3], s[2:3]
	v_cndmask_b32_e64 v1, 0, 1, s5
	s_and_not1_b32 vcc_lo, exec_lo, s5
	s_cbranch_vccnz .LBB3_4
; %bb.3:
	v_mov_b32_e32 v2, 0
	flat_load_b64 v[2:3], v2, s[24:25]
.LBB3_4:
	s_delay_alu instid0(VALU_DEP_1)
	v_cmp_ne_u32_e32 vcc_lo, 1, v1
	s_and_b32 s2, s4, exec_lo
	s_cselect_b32 s3, 0, s26
	s_cbranch_vccnz .LBB3_6
; %bb.5:
	s_load_b32 s3, s[26:27], 0x0
.LBB3_6:
	s_load_b32 s2, s[0:1], 0x0
	s_bfe_u32 s4, ttmp6, 0x4000c
	v_dual_lshlrev_b32 v1, 2, v0 :: v_dual_bitop2_b32 v12, 31, v0 bitop3:0x40
	s_add_co_i32 s4, s4, 1
	s_and_b32 s5, ttmp6, 15
	s_mul_i32 s4, ttmp9, s4
	s_getreg_b32 s6, hwreg(HW_REG_IB_STS2, 6, 4)
	s_add_co_i32 s5, s5, s4
	s_cmp_eq_u32 s6, 0
	v_and_b32_e32 v9, 0x380, v1
	v_dual_lshrrev_b32 v0, 5, v0 :: v_dual_mov_b32 v4, -1
	s_cselect_b32 s4, ttmp9, s5
	s_delay_alu instid0(SALU_CYCLE_1) | instskip(NEXT) | instid1(VALU_DEP_2)
	s_lshl_b32 s4, s4, 3
	v_lshl_or_b32 v5, v9, 2, 0x1000
	s_delay_alu instid0(VALU_DEP_2) | instskip(NEXT) | instid1(VALU_DEP_2)
	v_and_or_b32 v0, 0x7fffff8, s4, v0
	v_lshl_or_b32 v1, v12, 2, v5
	s_wait_kmcnt 0x0
	s_delay_alu instid0(VALU_DEP_2)
	v_cmp_gt_i32_e32 vcc_lo, s2, v0
	ds_store_2addr_b32 v1, v4, v4 offset1:32
	ds_store_2addr_b32 v1, v4, v4 offset0:64 offset1:96
	s_wait_loadcnt_dscnt 0x0
	s_and_saveexec_b32 s2, vcc_lo
	s_cbranch_execz .LBB3_78
; %bb.7:
	s_load_b512 s[4:19], s[0:1], 0x8
	s_mov_b32 s2, exec_lo
	v_lshlrev_b32_e32 v13, 2, v9
	s_wait_kmcnt 0x0
	global_load_b32 v0, v0, s[14:15] scale_offset
	s_wait_loadcnt 0x0
	v_ashrrev_i32_e32 v1, 31, v0
	s_delay_alu instid0(VALU_DEP_1)
	v_lshl_add_u64 v[6:7], v[0:1], 2, s[4:5]
	global_load_b64 v[10:11], v[6:7], off
	global_load_b32 v4, v0, s[10:11] scale_offset
	s_wait_loadcnt 0x1
	s_wait_xcnt 0x1
	v_subrev_nc_u32_e32 v6, s28, v10
	v_subrev_nc_u32_e32 v7, s28, v11
	s_delay_alu instid0(VALU_DEP_2) | instskip(SKIP_1) | instid1(VALU_DEP_1)
	v_add_nc_u32_e32 v8, v6, v12
	s_wait_xcnt 0x0
	v_cmpx_lt_i32_e64 v8, v7
	s_cbranch_execz .LBB3_30
; %bb.8:
	v_mov_b32_e32 v9, -1
	s_mov_b32 s14, 0
	s_branch .LBB3_10
.LBB3_9:                                ;   in Loop: Header=BB3_10 Depth=1
	s_or_b32 exec_lo, exec_lo, s15
	v_add_nc_u32_e32 v8, 32, v8
	s_delay_alu instid0(VALU_DEP_1) | instskip(SKIP_1) | instid1(SALU_CYCLE_1)
	v_cmp_ge_i32_e32 vcc_lo, v8, v7
	s_or_b32 s14, vcc_lo, s14
	s_and_not1_b32 exec_lo, exec_lo, s14
	s_cbranch_execz .LBB3_30
.LBB3_10:                               ; =>This Loop Header: Depth=1
                                        ;     Child Loop BB3_19 Depth 2
	global_load_b32 v10, v8, s[6:7] scale_offset
	v_mov_b32_e32 v11, 0x80
	s_mov_b32 s15, 0
                                        ; implicit-def: $sgpr22
                                        ; implicit-def: $sgpr23
                                        ; implicit-def: $sgpr24
	s_wait_loadcnt 0x0
	v_mul_lo_u32 v15, 0x67, v10
	s_branch .LBB3_19
.LBB3_11:                               ;   in Loop: Header=BB3_19 Depth=2
	s_or_b32 exec_lo, exec_lo, s38
	s_delay_alu instid0(SALU_CYCLE_1)
	s_or_not1_b32 s36, s36, exec_lo
	s_or_not1_b32 s37, s37, exec_lo
.LBB3_12:                               ;   in Loop: Header=BB3_19 Depth=2
	s_or_b32 exec_lo, exec_lo, s35
	s_delay_alu instid0(SALU_CYCLE_1)
	s_and_b32 s36, s36, exec_lo
	s_or_not1_b32 s35, s37, exec_lo
.LBB3_13:                               ;   in Loop: Header=BB3_19 Depth=2
	s_or_b32 exec_lo, exec_lo, s34
	s_delay_alu instid0(SALU_CYCLE_1)
	s_or_not1_b32 s34, s36, exec_lo
	s_or_not1_b32 s35, s35, exec_lo
.LBB3_14:                               ;   in Loop: Header=BB3_19 Depth=2
	s_or_b32 exec_lo, exec_lo, s33
	s_delay_alu instid0(SALU_CYCLE_1)
	s_and_b32 s34, s34, exec_lo
	s_or_not1_b32 s33, s35, exec_lo
.LBB3_15:                               ;   in Loop: Header=BB3_19 Depth=2
	s_or_b32 exec_lo, exec_lo, s31
	s_delay_alu instid0(SALU_CYCLE_1)
	s_or_not1_b32 s31, s34, exec_lo
	s_or_not1_b32 s33, s33, exec_lo
.LBB3_16:                               ;   in Loop: Header=BB3_19 Depth=2
	s_or_b32 exec_lo, exec_lo, s27
	s_delay_alu instid0(SALU_CYCLE_1)
	s_and_b32 s31, s31, exec_lo
	s_or_not1_b32 s27, s33, exec_lo
.LBB3_17:                               ;   in Loop: Header=BB3_19 Depth=2
	s_or_b32 exec_lo, exec_lo, s26
	s_delay_alu instid0(SALU_CYCLE_1)
	s_and_not1_b32 s24, s24, exec_lo
	s_and_b32 s26, s31, exec_lo
	s_and_not1_b32 s23, s23, exec_lo
	s_and_b32 s27, s27, exec_lo
	s_or_b32 s24, s24, s26
	s_or_b32 s23, s23, s27
.LBB3_18:                               ;   in Loop: Header=BB3_19 Depth=2
	s_or_b32 exec_lo, exec_lo, s25
	s_delay_alu instid0(SALU_CYCLE_1) | instskip(NEXT) | instid1(SALU_CYCLE_1)
	s_and_b32 s25, exec_lo, s23
	s_or_b32 s15, s25, s15
	s_and_not1_b32 s22, s22, exec_lo
	s_and_b32 s25, s24, exec_lo
	s_delay_alu instid0(SALU_CYCLE_1)
	s_or_b32 s22, s22, s25
	s_and_not1_b32 exec_lo, exec_lo, s15
	s_cbranch_execz .LBB3_28
.LBB3_19:                               ;   Parent Loop BB3_10 Depth=1
                                        ; =>  This Inner Loop Header: Depth=2
	s_delay_alu instid0(VALU_DEP_1) | instskip(SKIP_3) | instid1(VALU_DEP_1)
	v_and_b32_e32 v14, 0x7f, v15
	s_or_b32 s24, s24, exec_lo
	s_or_b32 s23, s23, exec_lo
	s_mov_b32 s25, exec_lo
	v_lshl_add_u32 v16, v14, 2, v5
	ds_load_b32 v17, v16
	s_wait_dscnt 0x0
	s_wait_xcnt 0x0
	v_cmpx_ne_u32_e64 v17, v10
	s_cbranch_execz .LBB3_18
; %bb.20:                               ;   in Loop: Header=BB3_19 Depth=2
	ds_cmpstore_rtn_b32 v16, v16, v10, v9
	s_mov_b32 s27, -1
	s_mov_b32 s31, 0
	s_mov_b32 s26, exec_lo
	s_wait_dscnt 0x0
	v_cmpx_ne_u32_e32 -1, v16
	s_cbranch_execz .LBB3_17
; %bb.21:                               ;   in Loop: Header=BB3_19 Depth=2
	v_add_nc_u32_e32 v14, 1, v15
	s_mov_b32 s33, -1
	s_mov_b32 s31, -1
	s_mov_b32 s27, exec_lo
	s_delay_alu instid0(VALU_DEP_1) | instskip(NEXT) | instid1(VALU_DEP_1)
	v_and_b32_e32 v14, 0x7f, v14
	v_lshl_add_u32 v16, v14, 2, v5
	ds_load_b32 v17, v16
	s_wait_dscnt 0x0
	v_cmpx_ne_u32_e64 v17, v10
	s_cbranch_execz .LBB3_16
; %bb.22:                               ;   in Loop: Header=BB3_19 Depth=2
	ds_cmpstore_rtn_b32 v16, v16, v10, v9
	s_mov_b32 s34, 0
	s_mov_b32 s31, exec_lo
	s_wait_dscnt 0x0
	v_cmpx_ne_u32_e32 -1, v16
	s_cbranch_execz .LBB3_15
; %bb.23:                               ;   in Loop: Header=BB3_19 Depth=2
	v_add_nc_u32_e32 v14, 2, v15
	s_mov_b32 s35, -1
	s_mov_b32 s34, -1
	s_mov_b32 s33, exec_lo
	s_delay_alu instid0(VALU_DEP_1) | instskip(NEXT) | instid1(VALU_DEP_1)
	v_and_b32_e32 v14, 0x7f, v14
	v_lshl_add_u32 v16, v14, 2, v5
	ds_load_b32 v17, v16
	s_wait_dscnt 0x0
	v_cmpx_ne_u32_e64 v17, v10
	s_cbranch_execz .LBB3_14
; %bb.24:                               ;   in Loop: Header=BB3_19 Depth=2
	ds_cmpstore_rtn_b32 v16, v16, v10, v9
	s_mov_b32 s36, 0
	s_mov_b32 s34, exec_lo
	s_wait_dscnt 0x0
	v_cmpx_ne_u32_e32 -1, v16
	s_cbranch_execz .LBB3_13
; %bb.25:                               ;   in Loop: Header=BB3_19 Depth=2
	v_add_nc_u32_e32 v14, 3, v15
	s_mov_b32 s37, -1
	s_mov_b32 s36, -1
	s_delay_alu instid0(VALU_DEP_1) | instskip(NEXT) | instid1(VALU_DEP_1)
	v_and_b32_e32 v14, 0x7f, v14
	v_lshl_add_u32 v16, v14, 2, v5
	ds_load_b32 v15, v16
	s_wait_dscnt 0x0
	v_cmp_ne_u32_e32 vcc_lo, v15, v10
                                        ; implicit-def: $vgpr15
	s_and_saveexec_b32 s35, vcc_lo
	s_cbranch_execz .LBB3_12
; %bb.26:                               ;   in Loop: Header=BB3_19 Depth=2
	ds_cmpstore_rtn_b32 v15, v16, v10, v9
	s_mov_b32 s36, 0
	s_wait_dscnt 0x0
	v_cmp_ne_u32_e32 vcc_lo, -1, v15
                                        ; implicit-def: $vgpr15
	s_and_saveexec_b32 s38, vcc_lo
	s_cbranch_execz .LBB3_11
; %bb.27:                               ;   in Loop: Header=BB3_19 Depth=2
	v_dual_add_nc_u32 v11, -4, v11 :: v_dual_add_nc_u32 v15, 1, v14
	s_mov_b32 s36, exec_lo
	s_delay_alu instid0(VALU_DEP_1)
	v_cmp_eq_u32_e32 vcc_lo, 0, v11
	s_or_not1_b32 s37, vcc_lo, exec_lo
	s_branch .LBB3_11
.LBB3_28:                               ;   in Loop: Header=BB3_10 Depth=1
	s_or_b32 exec_lo, exec_lo, s15
	s_xor_b32 s15, s22, -1
	s_delay_alu instid0(SALU_CYCLE_1) | instskip(NEXT) | instid1(SALU_CYCLE_1)
	s_and_saveexec_b32 s22, s15
	s_xor_b32 s15, exec_lo, s22
	s_cbranch_execz .LBB3_9
; %bb.29:                               ;   in Loop: Header=BB3_10 Depth=1
	v_lshl_add_u32 v10, v14, 2, v13
	ds_store_b32 v10, v8
	s_branch .LBB3_9
.LBB3_30:
	s_or_b32 exec_lo, exec_lo, s2
	s_delay_alu instid0(SALU_CYCLE_1)
	s_mov_b32 s2, exec_lo
	s_wait_loadcnt_dscnt 0x0
	v_cmpx_lt_i32_e64 v6, v4
	s_cbranch_execz .LBB3_60
; %bb.31:
	v_add_nc_u32_e32 v14, 1, v12
	s_mov_b32 s14, 0
	s_branch .LBB3_34
.LBB3_32:                               ;   in Loop: Header=BB3_34 Depth=1
	s_or_b32 exec_lo, exec_lo, s22
	v_add_nc_u32_e32 v6, 1, v6
	s_delay_alu instid0(VALU_DEP_1)
	v_cmp_ge_i32_e32 vcc_lo, v6, v4
	s_or_not1_b32 s22, vcc_lo, exec_lo
.LBB3_33:                               ;   in Loop: Header=BB3_34 Depth=1
	s_or_b32 exec_lo, exec_lo, s15
	s_delay_alu instid0(SALU_CYCLE_1) | instskip(NEXT) | instid1(SALU_CYCLE_1)
	s_and_b32 s15, exec_lo, s22
	s_or_b32 s14, s15, s14
	s_delay_alu instid0(SALU_CYCLE_1)
	s_and_not1_b32 exec_lo, exec_lo, s14
	s_cbranch_execz .LBB3_60
.LBB3_34:                               ; =>This Loop Header: Depth=1
                                        ;     Child Loop BB3_35 Depth 2
                                        ;     Child Loop BB3_40 Depth 2
                                        ;       Child Loop BB3_49 Depth 3
	s_clause 0x1
	global_load_b32 v7, v6, s[6:7] scale_offset
	global_load_b32 v15, v6, s[8:9] scale_offset
	s_mov_b32 s15, 0
	s_wait_loadcnt 0x1
	v_subrev_nc_u32_e32 v8, s28, v7
	v_ashrrev_i32_e32 v7, 31, v6
	s_clause 0x1
	global_load_b32 v17, v8, s[4:5] offset:4 scale_offset
	global_load_b32 v16, v8, s[10:11] scale_offset
	v_ashrrev_i32_e32 v9, 31, v8
	v_lshl_add_u64 v[10:11], v[6:7], 2, s[8:9]
	s_wait_xcnt 0x0
	s_delay_alu instid0(VALU_DEP_2)
	v_lshl_add_u64 v[8:9], v[8:9], 2, s[12:13]
.LBB3_35:                               ;   Parent Loop BB3_34 Depth=1
                                        ; =>  This Inner Loop Header: Depth=2
	global_load_b32 v7, v[8:9], off scope:SCOPE_DEV
	s_wait_loadcnt 0x0
	v_cmp_ne_u32_e32 vcc_lo, 0, v7
	s_or_b32 s15, vcc_lo, s15
	s_wait_xcnt 0x0
	s_and_not1_b32 exec_lo, exec_lo, s15
	s_cbranch_execnz .LBB3_35
; %bb.36:                               ;   in Loop: Header=BB3_34 Depth=1
	s_or_b32 exec_lo, exec_lo, s15
	v_subrev_nc_u32_e32 v7, s28, v17
	v_cmp_eq_u32_e32 vcc_lo, -1, v16
	global_inv scope:SCOPE_DEV
	s_mov_b32 s22, -1
	s_mov_b32 s15, exec_lo
	v_add_nc_u32_e32 v8, -1, v7
	s_delay_alu instid0(VALU_DEP_1)
	v_cndmask_b32_e32 v8, v16, v8, vcc_lo
	global_load_b32 v9, v8, s[8:9] scale_offset
	s_wait_loadcnt 0x0
	s_wait_xcnt 0x0
	v_cmpx_neq_f32_e32 0, v9
	s_cbranch_execz .LBB3_33
; %bb.37:                               ;   in Loop: Header=BB3_34 Depth=1
	v_div_scale_f32 v16, null, v9, v9, v15
	s_mov_b32 s22, exec_lo
	v_add_nc_u32_e32 v8, v14, v8
	v_rcp_f32_e32 v17, v16
	v_nop
	s_delay_alu instid0(TRANS32_DEP_1) | instskip(NEXT) | instid1(VALU_DEP_1)
	v_fma_f32 v18, -v16, v17, 1.0
	v_fmac_f32_e32 v17, v18, v17
	v_div_scale_f32 v18, vcc_lo, v15, v9, v15
	s_delay_alu instid0(VALU_DEP_1) | instskip(NEXT) | instid1(VALU_DEP_1)
	v_mul_f32_e32 v19, v18, v17
	v_fma_f32 v20, -v16, v19, v18
	s_delay_alu instid0(VALU_DEP_1) | instskip(NEXT) | instid1(VALU_DEP_1)
	v_fmac_f32_e32 v19, v20, v17
	v_fma_f32 v16, -v16, v19, v18
	s_delay_alu instid0(VALU_DEP_1) | instskip(NEXT) | instid1(VALU_DEP_1)
	v_div_fmas_f32 v16, v16, v17, v19
	v_div_fixup_f32 v15, v16, v9, v15
	global_store_b32 v[10:11], v15, off
	s_wait_xcnt 0x0
	v_cmpx_lt_i32_e64 v8, v7
	s_cbranch_execz .LBB3_32
; %bb.38:                               ;   in Loop: Header=BB3_34 Depth=1
	s_mov_b32 s23, 0
	s_branch .LBB3_40
.LBB3_39:                               ;   in Loop: Header=BB3_40 Depth=2
	s_wait_xcnt 0x0
	s_or_b32 exec_lo, exec_lo, s24
	v_add_nc_u32_e32 v8, 32, v8
	s_delay_alu instid0(VALU_DEP_1) | instskip(SKIP_1) | instid1(SALU_CYCLE_1)
	v_cmp_ge_i32_e32 vcc_lo, v8, v7
	s_or_b32 s23, vcc_lo, s23
	s_and_not1_b32 exec_lo, exec_lo, s23
	s_cbranch_execz .LBB3_32
.LBB3_40:                               ;   Parent Loop BB3_34 Depth=1
                                        ; =>  This Loop Header: Depth=2
                                        ;       Child Loop BB3_49 Depth 3
	global_load_b32 v10, v8, s[6:7] scale_offset
	v_ashrrev_i32_e32 v9, 31, v8
	v_mov_b32_e32 v11, 0x80
	s_mov_b32 s24, 0
                                        ; implicit-def: $sgpr25
                                        ; implicit-def: $sgpr26
                                        ; implicit-def: $sgpr27
	s_wait_loadcnt 0x0
	v_mul_lo_u32 v17, 0x67, v10
	s_branch .LBB3_49
.LBB3_41:                               ;   in Loop: Header=BB3_49 Depth=3
	s_or_b32 exec_lo, exec_lo, s41
	s_delay_alu instid0(SALU_CYCLE_1)
	s_or_not1_b32 s39, s39, exec_lo
	s_or_not1_b32 s40, s40, exec_lo
.LBB3_42:                               ;   in Loop: Header=BB3_49 Depth=3
	s_or_b32 exec_lo, exec_lo, s38
	s_delay_alu instid0(SALU_CYCLE_1)
	s_and_b32 s39, s39, exec_lo
	s_or_not1_b32 s38, s40, exec_lo
.LBB3_43:                               ;   in Loop: Header=BB3_49 Depth=3
	s_or_b32 exec_lo, exec_lo, s37
	s_delay_alu instid0(SALU_CYCLE_1)
	s_or_not1_b32 s37, s39, exec_lo
	s_or_not1_b32 s38, s38, exec_lo
.LBB3_44:                               ;   in Loop: Header=BB3_49 Depth=3
	s_or_b32 exec_lo, exec_lo, s36
	s_delay_alu instid0(SALU_CYCLE_1)
	s_and_b32 s37, s37, exec_lo
	s_or_not1_b32 s36, s38, exec_lo
.LBB3_45:                               ;   in Loop: Header=BB3_49 Depth=3
	s_or_b32 exec_lo, exec_lo, s35
	s_delay_alu instid0(SALU_CYCLE_1)
	s_or_not1_b32 s35, s37, exec_lo
	s_or_not1_b32 s36, s36, exec_lo
.LBB3_46:                               ;   in Loop: Header=BB3_49 Depth=3
	s_or_b32 exec_lo, exec_lo, s34
	s_delay_alu instid0(SALU_CYCLE_1)
	s_and_b32 s35, s35, exec_lo
	s_or_not1_b32 s34, s36, exec_lo
.LBB3_47:                               ;   in Loop: Header=BB3_49 Depth=3
	s_or_b32 exec_lo, exec_lo, s33
	s_delay_alu instid0(SALU_CYCLE_1)
	s_and_not1_b32 s27, s27, exec_lo
	s_and_b32 s33, s35, exec_lo
	s_and_not1_b32 s26, s26, exec_lo
	s_and_b32 s34, s34, exec_lo
	s_or_b32 s27, s27, s33
	s_or_b32 s26, s26, s34
.LBB3_48:                               ;   in Loop: Header=BB3_49 Depth=3
	s_or_b32 exec_lo, exec_lo, s31
	s_delay_alu instid0(SALU_CYCLE_1) | instskip(NEXT) | instid1(SALU_CYCLE_1)
	s_and_b32 s31, exec_lo, s26
	s_or_b32 s24, s31, s24
	s_and_not1_b32 s25, s25, exec_lo
	s_and_b32 s31, s27, exec_lo
	s_delay_alu instid0(SALU_CYCLE_1)
	s_or_b32 s25, s25, s31
	s_and_not1_b32 exec_lo, exec_lo, s24
	s_cbranch_execz .LBB3_58
.LBB3_49:                               ;   Parent Loop BB3_34 Depth=1
                                        ;     Parent Loop BB3_40 Depth=2
                                        ; =>    This Inner Loop Header: Depth=3
	s_delay_alu instid0(VALU_DEP_1) | instskip(SKIP_3) | instid1(VALU_DEP_1)
	v_and_b32_e32 v16, 0x7f, v17
	s_or_b32 s27, s27, exec_lo
	s_or_b32 s26, s26, exec_lo
	s_mov_b32 s31, exec_lo
	v_lshl_add_u32 v18, v16, 2, v5
	ds_load_b32 v18, v18
	s_wait_dscnt 0x0
	s_wait_xcnt 0x0
	v_cmpx_ne_u32_e32 -1, v18
	s_cbranch_execz .LBB3_48
; %bb.50:                               ;   in Loop: Header=BB3_49 Depth=3
	s_mov_b32 s34, -1
	s_mov_b32 s35, 0
	s_mov_b32 s33, exec_lo
	v_cmpx_ne_u32_e64 v18, v10
	s_cbranch_execz .LBB3_47
; %bb.51:                               ;   in Loop: Header=BB3_49 Depth=3
	v_add_nc_u32_e32 v16, 1, v17
	s_mov_b32 s36, -1
	s_mov_b32 s35, -1
	s_mov_b32 s34, exec_lo
	s_delay_alu instid0(VALU_DEP_1) | instskip(NEXT) | instid1(VALU_DEP_1)
	v_and_b32_e32 v16, 0x7f, v16
	v_lshl_add_u32 v18, v16, 2, v5
	ds_load_b32 v18, v18
	s_wait_dscnt 0x0
	v_cmpx_ne_u32_e32 -1, v18
	s_cbranch_execz .LBB3_46
; %bb.52:                               ;   in Loop: Header=BB3_49 Depth=3
	s_mov_b32 s37, 0
	s_mov_b32 s35, exec_lo
	v_cmpx_ne_u32_e64 v18, v10
	s_cbranch_execz .LBB3_45
; %bb.53:                               ;   in Loop: Header=BB3_49 Depth=3
	v_add_nc_u32_e32 v16, 2, v17
	s_mov_b32 s38, -1
	s_mov_b32 s37, -1
	s_mov_b32 s36, exec_lo
	s_delay_alu instid0(VALU_DEP_1) | instskip(NEXT) | instid1(VALU_DEP_1)
	v_and_b32_e32 v16, 0x7f, v16
	v_lshl_add_u32 v18, v16, 2, v5
	ds_load_b32 v18, v18
	s_wait_dscnt 0x0
	v_cmpx_ne_u32_e32 -1, v18
	s_cbranch_execz .LBB3_44
; %bb.54:                               ;   in Loop: Header=BB3_49 Depth=3
	s_mov_b32 s39, 0
	s_mov_b32 s37, exec_lo
	v_cmpx_ne_u32_e64 v18, v10
	s_cbranch_execz .LBB3_43
; %bb.55:                               ;   in Loop: Header=BB3_49 Depth=3
	v_add_nc_u32_e32 v16, 3, v17
	s_mov_b32 s40, -1
	s_mov_b32 s39, -1
	s_mov_b32 s38, exec_lo
	s_delay_alu instid0(VALU_DEP_1) | instskip(NEXT) | instid1(VALU_DEP_1)
	v_and_b32_e32 v16, 0x7f, v16
	v_lshl_add_u32 v17, v16, 2, v5
	ds_load_b32 v18, v17
                                        ; implicit-def: $vgpr17
	s_wait_dscnt 0x0
	v_cmpx_ne_u32_e32 -1, v18
	s_cbranch_execz .LBB3_42
; %bb.56:                               ;   in Loop: Header=BB3_49 Depth=3
	s_mov_b32 s39, 0
	s_mov_b32 s41, exec_lo
                                        ; implicit-def: $vgpr17
	v_cmpx_ne_u32_e64 v18, v10
	s_cbranch_execz .LBB3_41
; %bb.57:                               ;   in Loop: Header=BB3_49 Depth=3
	v_dual_add_nc_u32 v11, -4, v11 :: v_dual_add_nc_u32 v17, 1, v16
	s_mov_b32 s39, exec_lo
	s_delay_alu instid0(VALU_DEP_1)
	v_cmp_eq_u32_e32 vcc_lo, 0, v11
	s_or_not1_b32 s40, vcc_lo, exec_lo
	s_branch .LBB3_41
.LBB3_58:                               ;   in Loop: Header=BB3_40 Depth=2
	s_or_b32 exec_lo, exec_lo, s24
	s_xor_b32 s24, s25, -1
	s_delay_alu instid0(SALU_CYCLE_1) | instskip(NEXT) | instid1(SALU_CYCLE_1)
	s_and_saveexec_b32 s25, s24
	s_xor_b32 s24, exec_lo, s25
	s_cbranch_execz .LBB3_39
; %bb.59:                               ;   in Loop: Header=BB3_40 Depth=2
	v_lshl_add_u32 v10, v16, 2, v13
	ds_load_b32 v16, v10
	v_lshl_add_u64 v[10:11], v[8:9], 2, s[8:9]
	global_load_b32 v9, v[10:11], off
	s_wait_dscnt 0x0
	global_load_b32 v17, v16, s[8:9] scale_offset
	s_wait_loadcnt 0x0
	v_fma_f32 v9, -v15, v9, v17
	global_store_b32 v16, v9, s[8:9] scale_offset
	s_branch .LBB3_39
.LBB3_60:
	s_or_b32 exec_lo, exec_lo, s2
	s_mov_b32 s5, -1
	s_mov_b32 s4, exec_lo
	s_wait_storecnt 0x0
	v_cmpx_lt_i32_e32 -1, v4
	s_cbranch_execz .LBB3_76
; %bb.61:
	global_load_b32 v8, v4, s[8:9] scale_offset
	v_cmp_eq_u32_e64 s2, 0, v12
	s_wait_loadcnt 0x0
	v_cmp_gt_f32_e32 vcc_lo, 0, v8
	v_cndmask_b32_e64 v5, v8, -v8, vcc_lo
	s_and_not1_b32 vcc_lo, exec_lo, s29
	s_delay_alu instid0(VALU_DEP_1)
	v_cvt_f64_f32_e32 v[6:7], v5
	s_cbranch_vccnz .LBB3_65
; %bb.62:
	v_cvt_f64_f32_e32 v[10:11], s30
	s_cmp_eq_u64 s[20:21], 8
	s_cselect_b32 vcc_lo, -1, 0
	s_delay_alu instid0(VALU_DEP_1) | instskip(NEXT) | instid1(VALU_DEP_1)
	v_dual_cndmask_b32 v3, v11, v3 :: v_dual_cndmask_b32 v2, v10, v2
	v_cmp_ge_f64_e32 vcc_lo, v[2:3], v[6:7]
	s_and_b32 s6, s2, vcc_lo
	s_delay_alu instid0(SALU_CYCLE_1)
	s_and_saveexec_b32 s5, s6
	s_cbranch_execz .LBB3_64
; %bb.63:
	v_dual_mov_b32 v5, 0 :: v_dual_mov_b32 v9, s3
	s_delay_alu instid0(VALU_DEP_1)
	v_lshl_add_u64 v[2:3], v[4:5], 2, s[8:9]
	global_store_b32 v[2:3], v9, off
	global_wb scope:SCOPE_DEV
	s_wait_storecnt 0x0
	global_inv scope:SCOPE_DEV
.LBB3_64:
	s_wait_xcnt 0x0
	s_or_b32 exec_lo, exec_lo, s5
	s_mov_b32 s5, 0
.LBB3_65:
	s_delay_alu instid0(SALU_CYCLE_1)
	s_and_not1_b32 vcc_lo, exec_lo, s5
	s_cbranch_vccnz .LBB3_76
; %bb.66:
	s_load_b64 s[0:1], s[0:1], 0x48
	v_add_nc_u32_e32 v2, s28, v0
	s_wait_kmcnt 0x0
	s_delay_alu instid0(VALU_DEP_2) | instskip(SKIP_1) | instid1(SALU_CYCLE_1)
	v_cmp_ge_f64_e32 vcc_lo, s[0:1], v[6:7]
	s_and_b32 s1, s2, vcc_lo
	s_and_saveexec_b32 s0, s1
	s_cbranch_execz .LBB3_71
; %bb.67:
	s_mov_b32 s3, exec_lo
	s_brev_b32 s1, -2
.LBB3_68:                               ; =>This Inner Loop Header: Depth=1
	s_ctz_i32_b32 s5, s3
	s_delay_alu instid0(SALU_CYCLE_1) | instskip(SKIP_1) | instid1(SALU_CYCLE_1)
	v_readlane_b32 s6, v2, s5
	s_lshl_b32 s5, 1, s5
	s_and_not1_b32 s3, s3, s5
	s_min_i32 s1, s1, s6
	s_cmp_lg_u32 s3, 0
	s_cbranch_scc1 .LBB3_68
; %bb.69:
	v_mbcnt_lo_u32_b32 v3, exec_lo, 0
	s_mov_b32 s3, exec_lo
	s_delay_alu instid0(VALU_DEP_1)
	v_cmpx_eq_u32_e32 0, v3
	s_xor_b32 s3, exec_lo, s3
	s_cbranch_execz .LBB3_71
; %bb.70:
	v_dual_mov_b32 v3, 0 :: v_dual_mov_b32 v4, s1
	global_atomic_min_i32 v3, v4, s[18:19] scope:SCOPE_DEV
.LBB3_71:
	s_wait_xcnt 0x0
	s_or_b32 exec_lo, exec_lo, s0
	v_cmp_eq_f32_e32 vcc_lo, 0, v8
	s_and_b32 s0, s2, vcc_lo
	s_delay_alu instid0(SALU_CYCLE_1)
	s_and_b32 exec_lo, exec_lo, s0
	s_cbranch_execz .LBB3_76
; %bb.72:
	s_mov_b32 s1, exec_lo
	s_brev_b32 s0, -2
.LBB3_73:                               ; =>This Inner Loop Header: Depth=1
	s_ctz_i32_b32 s2, s1
	s_delay_alu instid0(SALU_CYCLE_1) | instskip(SKIP_1) | instid1(SALU_CYCLE_1)
	v_readlane_b32 s3, v2, s2
	s_lshl_b32 s2, 1, s2
	s_and_not1_b32 s1, s1, s2
	s_min_i32 s0, s0, s3
	s_cmp_lg_u32 s1, 0
	s_cbranch_scc1 .LBB3_73
; %bb.74:
	v_mbcnt_lo_u32_b32 v2, exec_lo, 0
	s_mov_b32 s1, exec_lo
	s_delay_alu instid0(VALU_DEP_1)
	v_cmpx_eq_u32_e32 0, v2
	s_xor_b32 s1, exec_lo, s1
	s_cbranch_execz .LBB3_76
; %bb.75:
	v_dual_mov_b32 v2, 0 :: v_dual_mov_b32 v3, s0
	global_atomic_min_i32 v2, v3, s[16:17] scope:SCOPE_DEV
.LBB3_76:
	s_wait_xcnt 0x0
	s_or_b32 exec_lo, exec_lo, s4
	v_cmp_eq_u32_e32 vcc_lo, 0, v12
	global_wb scope:SCOPE_DEV
	s_wait_loadcnt 0x0
	s_wait_storecnt 0x0
	global_inv scope:SCOPE_DEV
	s_and_b32 exec_lo, exec_lo, vcc_lo
	s_cbranch_execz .LBB3_78
; %bb.77:
	v_lshl_add_u64 v[0:1], v[0:1], 2, s[12:13]
	v_mov_b32_e32 v2, 1
	global_wb scope:SCOPE_DEV
	s_wait_loadcnt 0x0
	s_wait_storecnt 0x0
	global_store_b32 v[0:1], v2, off scope:SCOPE_DEV
.LBB3_78:
	s_endpgm
	.section	.rodata,"a",@progbits
	.p2align	6, 0x0
	.amdhsa_kernel _ZN9rocsparseL12csrilu0_hashILj256ELj32ELj4EfEEviPKiS2_PT2_S2_PiS2_S5_S5_d21rocsparse_index_base_imNS_24const_host_device_scalarIfEENS7_IdEENS7_IS3_EEb
		.amdhsa_group_segment_fixed_size 8192
		.amdhsa_private_segment_fixed_size 0
		.amdhsa_kernarg_size 124
		.amdhsa_user_sgpr_count 2
		.amdhsa_user_sgpr_dispatch_ptr 0
		.amdhsa_user_sgpr_queue_ptr 0
		.amdhsa_user_sgpr_kernarg_segment_ptr 1
		.amdhsa_user_sgpr_dispatch_id 0
		.amdhsa_user_sgpr_kernarg_preload_length 0
		.amdhsa_user_sgpr_kernarg_preload_offset 0
		.amdhsa_user_sgpr_private_segment_size 0
		.amdhsa_wavefront_size32 1
		.amdhsa_uses_dynamic_stack 0
		.amdhsa_enable_private_segment 0
		.amdhsa_system_sgpr_workgroup_id_x 1
		.amdhsa_system_sgpr_workgroup_id_y 0
		.amdhsa_system_sgpr_workgroup_id_z 0
		.amdhsa_system_sgpr_workgroup_info 0
		.amdhsa_system_vgpr_workitem_id 0
		.amdhsa_next_free_vgpr 21
		.amdhsa_next_free_sgpr 42
		.amdhsa_named_barrier_count 0
		.amdhsa_reserve_vcc 1
		.amdhsa_float_round_mode_32 0
		.amdhsa_float_round_mode_16_64 0
		.amdhsa_float_denorm_mode_32 3
		.amdhsa_float_denorm_mode_16_64 3
		.amdhsa_fp16_overflow 0
		.amdhsa_memory_ordered 1
		.amdhsa_forward_progress 1
		.amdhsa_inst_pref_size 22
		.amdhsa_round_robin_scheduling 0
		.amdhsa_exception_fp_ieee_invalid_op 0
		.amdhsa_exception_fp_denorm_src 0
		.amdhsa_exception_fp_ieee_div_zero 0
		.amdhsa_exception_fp_ieee_overflow 0
		.amdhsa_exception_fp_ieee_underflow 0
		.amdhsa_exception_fp_ieee_inexact 0
		.amdhsa_exception_int_div_zero 0
	.end_amdhsa_kernel
	.section	.text._ZN9rocsparseL12csrilu0_hashILj256ELj32ELj4EfEEviPKiS2_PT2_S2_PiS2_S5_S5_d21rocsparse_index_base_imNS_24const_host_device_scalarIfEENS7_IdEENS7_IS3_EEb,"axG",@progbits,_ZN9rocsparseL12csrilu0_hashILj256ELj32ELj4EfEEviPKiS2_PT2_S2_PiS2_S5_S5_d21rocsparse_index_base_imNS_24const_host_device_scalarIfEENS7_IdEENS7_IS3_EEb,comdat
.Lfunc_end3:
	.size	_ZN9rocsparseL12csrilu0_hashILj256ELj32ELj4EfEEviPKiS2_PT2_S2_PiS2_S5_S5_d21rocsparse_index_base_imNS_24const_host_device_scalarIfEENS7_IdEENS7_IS3_EEb, .Lfunc_end3-_ZN9rocsparseL12csrilu0_hashILj256ELj32ELj4EfEEviPKiS2_PT2_S2_PiS2_S5_S5_d21rocsparse_index_base_imNS_24const_host_device_scalarIfEENS7_IdEENS7_IS3_EEb
                                        ; -- End function
	.set _ZN9rocsparseL12csrilu0_hashILj256ELj32ELj4EfEEviPKiS2_PT2_S2_PiS2_S5_S5_d21rocsparse_index_base_imNS_24const_host_device_scalarIfEENS7_IdEENS7_IS3_EEb.num_vgpr, 21
	.set _ZN9rocsparseL12csrilu0_hashILj256ELj32ELj4EfEEviPKiS2_PT2_S2_PiS2_S5_S5_d21rocsparse_index_base_imNS_24const_host_device_scalarIfEENS7_IdEENS7_IS3_EEb.num_agpr, 0
	.set _ZN9rocsparseL12csrilu0_hashILj256ELj32ELj4EfEEviPKiS2_PT2_S2_PiS2_S5_S5_d21rocsparse_index_base_imNS_24const_host_device_scalarIfEENS7_IdEENS7_IS3_EEb.numbered_sgpr, 42
	.set _ZN9rocsparseL12csrilu0_hashILj256ELj32ELj4EfEEviPKiS2_PT2_S2_PiS2_S5_S5_d21rocsparse_index_base_imNS_24const_host_device_scalarIfEENS7_IdEENS7_IS3_EEb.num_named_barrier, 0
	.set _ZN9rocsparseL12csrilu0_hashILj256ELj32ELj4EfEEviPKiS2_PT2_S2_PiS2_S5_S5_d21rocsparse_index_base_imNS_24const_host_device_scalarIfEENS7_IdEENS7_IS3_EEb.private_seg_size, 0
	.set _ZN9rocsparseL12csrilu0_hashILj256ELj32ELj4EfEEviPKiS2_PT2_S2_PiS2_S5_S5_d21rocsparse_index_base_imNS_24const_host_device_scalarIfEENS7_IdEENS7_IS3_EEb.uses_vcc, 1
	.set _ZN9rocsparseL12csrilu0_hashILj256ELj32ELj4EfEEviPKiS2_PT2_S2_PiS2_S5_S5_d21rocsparse_index_base_imNS_24const_host_device_scalarIfEENS7_IdEENS7_IS3_EEb.uses_flat_scratch, 0
	.set _ZN9rocsparseL12csrilu0_hashILj256ELj32ELj4EfEEviPKiS2_PT2_S2_PiS2_S5_S5_d21rocsparse_index_base_imNS_24const_host_device_scalarIfEENS7_IdEENS7_IS3_EEb.has_dyn_sized_stack, 0
	.set _ZN9rocsparseL12csrilu0_hashILj256ELj32ELj4EfEEviPKiS2_PT2_S2_PiS2_S5_S5_d21rocsparse_index_base_imNS_24const_host_device_scalarIfEENS7_IdEENS7_IS3_EEb.has_recursion, 0
	.set _ZN9rocsparseL12csrilu0_hashILj256ELj32ELj4EfEEviPKiS2_PT2_S2_PiS2_S5_S5_d21rocsparse_index_base_imNS_24const_host_device_scalarIfEENS7_IdEENS7_IS3_EEb.has_indirect_call, 0
	.section	.AMDGPU.csdata,"",@progbits
; Kernel info:
; codeLenInByte = 2808
; TotalNumSgprs: 44
; NumVgprs: 21
; ScratchSize: 0
; MemoryBound: 0
; FloatMode: 240
; IeeeMode: 1
; LDSByteSize: 8192 bytes/workgroup (compile time only)
; SGPRBlocks: 0
; VGPRBlocks: 1
; NumSGPRsForWavesPerEU: 44
; NumVGPRsForWavesPerEU: 21
; NamedBarCnt: 0
; Occupancy: 16
; WaveLimiterHint : 1
; COMPUTE_PGM_RSRC2:SCRATCH_EN: 0
; COMPUTE_PGM_RSRC2:USER_SGPR: 2
; COMPUTE_PGM_RSRC2:TRAP_HANDLER: 0
; COMPUTE_PGM_RSRC2:TGID_X_EN: 1
; COMPUTE_PGM_RSRC2:TGID_Y_EN: 0
; COMPUTE_PGM_RSRC2:TGID_Z_EN: 0
; COMPUTE_PGM_RSRC2:TIDIG_COMP_CNT: 0
	.section	.text._ZN9rocsparseL12csrilu0_hashILj256ELj32ELj8EfEEviPKiS2_PT2_S2_PiS2_S5_S5_d21rocsparse_index_base_imNS_24const_host_device_scalarIfEENS7_IdEENS7_IS3_EEb,"axG",@progbits,_ZN9rocsparseL12csrilu0_hashILj256ELj32ELj8EfEEviPKiS2_PT2_S2_PiS2_S5_S5_d21rocsparse_index_base_imNS_24const_host_device_scalarIfEENS7_IdEENS7_IS3_EEb,comdat
	.globl	_ZN9rocsparseL12csrilu0_hashILj256ELj32ELj8EfEEviPKiS2_PT2_S2_PiS2_S5_S5_d21rocsparse_index_base_imNS_24const_host_device_scalarIfEENS7_IdEENS7_IS3_EEb ; -- Begin function _ZN9rocsparseL12csrilu0_hashILj256ELj32ELj8EfEEviPKiS2_PT2_S2_PiS2_S5_S5_d21rocsparse_index_base_imNS_24const_host_device_scalarIfEENS7_IdEENS7_IS3_EEb
	.p2align	8
	.type	_ZN9rocsparseL12csrilu0_hashILj256ELj32ELj8EfEEviPKiS2_PT2_S2_PiS2_S5_S5_d21rocsparse_index_base_imNS_24const_host_device_scalarIfEENS7_IdEENS7_IS3_EEb,@function
_ZN9rocsparseL12csrilu0_hashILj256ELj32ELj8EfEEviPKiS2_PT2_S2_PiS2_S5_S5_d21rocsparse_index_base_imNS_24const_host_device_scalarIfEENS7_IdEENS7_IS3_EEb: ; @_ZN9rocsparseL12csrilu0_hashILj256ELj32ELj8EfEEviPKiS2_PT2_S2_PiS2_S5_S5_d21rocsparse_index_base_imNS_24const_host_device_scalarIfEENS7_IdEENS7_IS3_EEb
; %bb.0:
	s_clause 0x2
	s_load_b32 s2, s[0:1], 0x78
	s_load_b64 s[28:29], s[0:1], 0x50
	s_load_b256 s[20:27], s[0:1], 0x58
	s_wait_kmcnt 0x0
	s_bitcmp1_b32 s2, 0
	s_cselect_b32 s2, -1, 0
	s_cmp_eq_u32 s29, 0
	s_cselect_b32 s4, -1, 0
	s_cmp_lg_u32 s29, 0
	s_cselect_b32 s29, -1, 0
	s_or_b32 s6, s4, s2
	s_delay_alu instid0(SALU_CYCLE_1)
	s_xor_b32 s5, s6, -1
	s_and_b32 s2, s4, exec_lo
	s_cselect_b32 s3, 0, s25
	s_cselect_b32 s2, 0, s24
	;; [unrolled: 1-line block ×3, first 2 shown]
	s_and_b32 vcc_lo, exec_lo, s6
	s_cbranch_vccnz .LBB4_2
; %bb.1:
	s_load_b32 s30, s[22:23], 0x0
	s_mov_b64 s[2:3], s[24:25]
.LBB4_2:
	s_delay_alu instid0(SALU_CYCLE_1)
	v_mov_b64_e32 v[2:3], s[2:3]
	v_cndmask_b32_e64 v1, 0, 1, s5
	s_and_not1_b32 vcc_lo, exec_lo, s5
	s_cbranch_vccnz .LBB4_4
; %bb.3:
	v_mov_b32_e32 v2, 0
	flat_load_b64 v[2:3], v2, s[24:25]
.LBB4_4:
	s_delay_alu instid0(VALU_DEP_1)
	v_cmp_ne_u32_e32 vcc_lo, 1, v1
	s_and_b32 s2, s4, exec_lo
	s_cselect_b32 s3, 0, s26
	s_cbranch_vccnz .LBB4_6
; %bb.5:
	s_load_b32 s3, s[26:27], 0x0
.LBB4_6:
	s_load_b32 s2, s[0:1], 0x0
	s_bfe_u32 s4, ttmp6, 0x4000c
	v_dual_lshlrev_b32 v1, 3, v0 :: v_dual_bitop2_b32 v12, 31, v0 bitop3:0x40
	s_add_co_i32 s4, s4, 1
	s_and_b32 s5, ttmp6, 15
	s_mul_i32 s4, ttmp9, s4
	s_getreg_b32 s6, hwreg(HW_REG_IB_STS2, 6, 4)
	s_add_co_i32 s5, s5, s4
	s_cmp_eq_u32 s6, 0
	v_and_b32_e32 v9, 0x700, v1
	v_dual_lshrrev_b32 v0, 5, v0 :: v_dual_mov_b32 v4, -1
	s_cselect_b32 s4, ttmp9, s5
	s_delay_alu instid0(SALU_CYCLE_1) | instskip(NEXT) | instid1(VALU_DEP_2)
	s_lshl_b32 s4, s4, 3
	v_lshl_or_b32 v5, v9, 2, 0x2000
	s_delay_alu instid0(VALU_DEP_2) | instskip(NEXT) | instid1(VALU_DEP_2)
	v_and_or_b32 v0, 0x7fffff8, s4, v0
	v_lshl_or_b32 v1, v12, 2, v5
	s_wait_kmcnt 0x0
	s_delay_alu instid0(VALU_DEP_2)
	v_cmp_gt_i32_e32 vcc_lo, s2, v0
	ds_store_2addr_b32 v1, v4, v4 offset1:32
	ds_store_2addr_b32 v1, v4, v4 offset0:64 offset1:96
	ds_store_2addr_b32 v1, v4, v4 offset0:128 offset1:160
	ds_store_2addr_b32 v1, v4, v4 offset0:192 offset1:224
	s_wait_loadcnt_dscnt 0x0
	s_and_saveexec_b32 s2, vcc_lo
	s_cbranch_execz .LBB4_78
; %bb.7:
	s_load_b512 s[4:19], s[0:1], 0x8
	s_mov_b32 s2, exec_lo
	v_lshlrev_b32_e32 v13, 2, v9
	s_wait_kmcnt 0x0
	global_load_b32 v0, v0, s[14:15] scale_offset
	s_wait_loadcnt 0x0
	v_ashrrev_i32_e32 v1, 31, v0
	s_delay_alu instid0(VALU_DEP_1)
	v_lshl_add_u64 v[6:7], v[0:1], 2, s[4:5]
	global_load_b64 v[10:11], v[6:7], off
	global_load_b32 v4, v0, s[10:11] scale_offset
	s_wait_loadcnt 0x1
	s_wait_xcnt 0x1
	v_subrev_nc_u32_e32 v6, s28, v10
	v_subrev_nc_u32_e32 v7, s28, v11
	s_delay_alu instid0(VALU_DEP_2) | instskip(SKIP_1) | instid1(VALU_DEP_1)
	v_add_nc_u32_e32 v8, v6, v12
	s_wait_xcnt 0x0
	v_cmpx_lt_i32_e64 v8, v7
	s_cbranch_execz .LBB4_30
; %bb.8:
	v_mov_b32_e32 v9, -1
	s_mov_b32 s14, 0
	s_branch .LBB4_10
.LBB4_9:                                ;   in Loop: Header=BB4_10 Depth=1
	s_or_b32 exec_lo, exec_lo, s15
	v_add_nc_u32_e32 v8, 32, v8
	s_delay_alu instid0(VALU_DEP_1) | instskip(SKIP_1) | instid1(SALU_CYCLE_1)
	v_cmp_ge_i32_e32 vcc_lo, v8, v7
	s_or_b32 s14, vcc_lo, s14
	s_and_not1_b32 exec_lo, exec_lo, s14
	s_cbranch_execz .LBB4_30
.LBB4_10:                               ; =>This Loop Header: Depth=1
                                        ;     Child Loop BB4_19 Depth 2
	global_load_b32 v10, v8, s[6:7] scale_offset
	v_mov_b32_e32 v11, 0x100
	s_mov_b32 s15, 0
                                        ; implicit-def: $sgpr22
                                        ; implicit-def: $sgpr23
                                        ; implicit-def: $sgpr24
	s_wait_loadcnt 0x0
	v_mul_lo_u32 v15, 0x67, v10
	s_branch .LBB4_19
.LBB4_11:                               ;   in Loop: Header=BB4_19 Depth=2
	s_or_b32 exec_lo, exec_lo, s38
	s_delay_alu instid0(SALU_CYCLE_1)
	s_or_not1_b32 s36, s36, exec_lo
	s_or_not1_b32 s37, s37, exec_lo
.LBB4_12:                               ;   in Loop: Header=BB4_19 Depth=2
	s_or_b32 exec_lo, exec_lo, s35
	s_delay_alu instid0(SALU_CYCLE_1)
	s_and_b32 s36, s36, exec_lo
	s_or_not1_b32 s35, s37, exec_lo
.LBB4_13:                               ;   in Loop: Header=BB4_19 Depth=2
	s_or_b32 exec_lo, exec_lo, s34
	s_delay_alu instid0(SALU_CYCLE_1)
	s_or_not1_b32 s34, s36, exec_lo
	s_or_not1_b32 s35, s35, exec_lo
.LBB4_14:                               ;   in Loop: Header=BB4_19 Depth=2
	s_or_b32 exec_lo, exec_lo, s33
	s_delay_alu instid0(SALU_CYCLE_1)
	s_and_b32 s34, s34, exec_lo
	s_or_not1_b32 s33, s35, exec_lo
.LBB4_15:                               ;   in Loop: Header=BB4_19 Depth=2
	s_or_b32 exec_lo, exec_lo, s31
	s_delay_alu instid0(SALU_CYCLE_1)
	s_or_not1_b32 s31, s34, exec_lo
	s_or_not1_b32 s33, s33, exec_lo
.LBB4_16:                               ;   in Loop: Header=BB4_19 Depth=2
	s_or_b32 exec_lo, exec_lo, s27
	s_delay_alu instid0(SALU_CYCLE_1)
	s_and_b32 s31, s31, exec_lo
	s_or_not1_b32 s27, s33, exec_lo
.LBB4_17:                               ;   in Loop: Header=BB4_19 Depth=2
	s_or_b32 exec_lo, exec_lo, s26
	s_delay_alu instid0(SALU_CYCLE_1)
	s_and_not1_b32 s24, s24, exec_lo
	s_and_b32 s26, s31, exec_lo
	s_and_not1_b32 s23, s23, exec_lo
	s_and_b32 s27, s27, exec_lo
	s_or_b32 s24, s24, s26
	s_or_b32 s23, s23, s27
.LBB4_18:                               ;   in Loop: Header=BB4_19 Depth=2
	s_or_b32 exec_lo, exec_lo, s25
	s_delay_alu instid0(SALU_CYCLE_1) | instskip(NEXT) | instid1(SALU_CYCLE_1)
	s_and_b32 s25, exec_lo, s23
	s_or_b32 s15, s25, s15
	s_and_not1_b32 s22, s22, exec_lo
	s_and_b32 s25, s24, exec_lo
	s_delay_alu instid0(SALU_CYCLE_1)
	s_or_b32 s22, s22, s25
	s_and_not1_b32 exec_lo, exec_lo, s15
	s_cbranch_execz .LBB4_28
.LBB4_19:                               ;   Parent Loop BB4_10 Depth=1
                                        ; =>  This Inner Loop Header: Depth=2
	s_delay_alu instid0(VALU_DEP_1) | instskip(SKIP_3) | instid1(VALU_DEP_1)
	v_and_b32_e32 v14, 0xff, v15
	s_or_b32 s24, s24, exec_lo
	s_or_b32 s23, s23, exec_lo
	s_mov_b32 s25, exec_lo
	v_lshl_add_u32 v16, v14, 2, v5
	ds_load_b32 v17, v16
	s_wait_dscnt 0x0
	s_wait_xcnt 0x0
	v_cmpx_ne_u32_e64 v17, v10
	s_cbranch_execz .LBB4_18
; %bb.20:                               ;   in Loop: Header=BB4_19 Depth=2
	ds_cmpstore_rtn_b32 v16, v16, v10, v9
	s_mov_b32 s27, -1
	s_mov_b32 s31, 0
	s_mov_b32 s26, exec_lo
	s_wait_dscnt 0x0
	v_cmpx_ne_u32_e32 -1, v16
	s_cbranch_execz .LBB4_17
; %bb.21:                               ;   in Loop: Header=BB4_19 Depth=2
	v_add_nc_u32_e32 v14, 1, v15
	s_mov_b32 s33, -1
	s_mov_b32 s31, -1
	s_mov_b32 s27, exec_lo
	s_delay_alu instid0(VALU_DEP_1) | instskip(NEXT) | instid1(VALU_DEP_1)
	v_and_b32_e32 v14, 0xff, v14
	v_lshl_add_u32 v16, v14, 2, v5
	ds_load_b32 v17, v16
	s_wait_dscnt 0x0
	v_cmpx_ne_u32_e64 v17, v10
	s_cbranch_execz .LBB4_16
; %bb.22:                               ;   in Loop: Header=BB4_19 Depth=2
	ds_cmpstore_rtn_b32 v16, v16, v10, v9
	s_mov_b32 s34, 0
	s_mov_b32 s31, exec_lo
	s_wait_dscnt 0x0
	v_cmpx_ne_u32_e32 -1, v16
	s_cbranch_execz .LBB4_15
; %bb.23:                               ;   in Loop: Header=BB4_19 Depth=2
	v_add_nc_u32_e32 v14, 2, v15
	s_mov_b32 s35, -1
	s_mov_b32 s34, -1
	s_mov_b32 s33, exec_lo
	s_delay_alu instid0(VALU_DEP_1) | instskip(NEXT) | instid1(VALU_DEP_1)
	v_and_b32_e32 v14, 0xff, v14
	v_lshl_add_u32 v16, v14, 2, v5
	ds_load_b32 v17, v16
	s_wait_dscnt 0x0
	v_cmpx_ne_u32_e64 v17, v10
	s_cbranch_execz .LBB4_14
; %bb.24:                               ;   in Loop: Header=BB4_19 Depth=2
	ds_cmpstore_rtn_b32 v16, v16, v10, v9
	s_mov_b32 s36, 0
	s_mov_b32 s34, exec_lo
	s_wait_dscnt 0x0
	v_cmpx_ne_u32_e32 -1, v16
	s_cbranch_execz .LBB4_13
; %bb.25:                               ;   in Loop: Header=BB4_19 Depth=2
	v_add_nc_u32_e32 v14, 3, v15
	s_mov_b32 s37, -1
	s_mov_b32 s36, -1
	s_delay_alu instid0(VALU_DEP_1) | instskip(NEXT) | instid1(VALU_DEP_1)
	v_and_b32_e32 v14, 0xff, v14
	v_lshl_add_u32 v16, v14, 2, v5
	ds_load_b32 v15, v16
	s_wait_dscnt 0x0
	v_cmp_ne_u32_e32 vcc_lo, v15, v10
                                        ; implicit-def: $vgpr15
	s_and_saveexec_b32 s35, vcc_lo
	s_cbranch_execz .LBB4_12
; %bb.26:                               ;   in Loop: Header=BB4_19 Depth=2
	ds_cmpstore_rtn_b32 v15, v16, v10, v9
	s_mov_b32 s36, 0
	s_wait_dscnt 0x0
	v_cmp_ne_u32_e32 vcc_lo, -1, v15
                                        ; implicit-def: $vgpr15
	s_and_saveexec_b32 s38, vcc_lo
	s_cbranch_execz .LBB4_11
; %bb.27:                               ;   in Loop: Header=BB4_19 Depth=2
	v_dual_add_nc_u32 v11, -4, v11 :: v_dual_add_nc_u32 v15, 1, v14
	s_mov_b32 s36, exec_lo
	s_delay_alu instid0(VALU_DEP_1)
	v_cmp_eq_u32_e32 vcc_lo, 0, v11
	s_or_not1_b32 s37, vcc_lo, exec_lo
	s_branch .LBB4_11
.LBB4_28:                               ;   in Loop: Header=BB4_10 Depth=1
	s_or_b32 exec_lo, exec_lo, s15
	s_xor_b32 s15, s22, -1
	s_delay_alu instid0(SALU_CYCLE_1) | instskip(NEXT) | instid1(SALU_CYCLE_1)
	s_and_saveexec_b32 s22, s15
	s_xor_b32 s15, exec_lo, s22
	s_cbranch_execz .LBB4_9
; %bb.29:                               ;   in Loop: Header=BB4_10 Depth=1
	v_lshl_add_u32 v10, v14, 2, v13
	ds_store_b32 v10, v8
	s_branch .LBB4_9
.LBB4_30:
	s_or_b32 exec_lo, exec_lo, s2
	s_delay_alu instid0(SALU_CYCLE_1)
	s_mov_b32 s2, exec_lo
	s_wait_loadcnt_dscnt 0x0
	v_cmpx_lt_i32_e64 v6, v4
	s_cbranch_execz .LBB4_60
; %bb.31:
	v_add_nc_u32_e32 v14, 1, v12
	s_mov_b32 s14, 0
	s_branch .LBB4_34
.LBB4_32:                               ;   in Loop: Header=BB4_34 Depth=1
	s_or_b32 exec_lo, exec_lo, s22
	v_add_nc_u32_e32 v6, 1, v6
	s_delay_alu instid0(VALU_DEP_1)
	v_cmp_ge_i32_e32 vcc_lo, v6, v4
	s_or_not1_b32 s22, vcc_lo, exec_lo
.LBB4_33:                               ;   in Loop: Header=BB4_34 Depth=1
	s_or_b32 exec_lo, exec_lo, s15
	s_delay_alu instid0(SALU_CYCLE_1) | instskip(NEXT) | instid1(SALU_CYCLE_1)
	s_and_b32 s15, exec_lo, s22
	s_or_b32 s14, s15, s14
	s_delay_alu instid0(SALU_CYCLE_1)
	s_and_not1_b32 exec_lo, exec_lo, s14
	s_cbranch_execz .LBB4_60
.LBB4_34:                               ; =>This Loop Header: Depth=1
                                        ;     Child Loop BB4_35 Depth 2
                                        ;     Child Loop BB4_40 Depth 2
                                        ;       Child Loop BB4_49 Depth 3
	s_clause 0x1
	global_load_b32 v7, v6, s[6:7] scale_offset
	global_load_b32 v15, v6, s[8:9] scale_offset
	s_mov_b32 s15, 0
	s_wait_loadcnt 0x1
	v_subrev_nc_u32_e32 v8, s28, v7
	v_ashrrev_i32_e32 v7, 31, v6
	s_clause 0x1
	global_load_b32 v17, v8, s[4:5] offset:4 scale_offset
	global_load_b32 v16, v8, s[10:11] scale_offset
	v_ashrrev_i32_e32 v9, 31, v8
	v_lshl_add_u64 v[10:11], v[6:7], 2, s[8:9]
	s_wait_xcnt 0x0
	s_delay_alu instid0(VALU_DEP_2)
	v_lshl_add_u64 v[8:9], v[8:9], 2, s[12:13]
.LBB4_35:                               ;   Parent Loop BB4_34 Depth=1
                                        ; =>  This Inner Loop Header: Depth=2
	global_load_b32 v7, v[8:9], off scope:SCOPE_DEV
	s_wait_loadcnt 0x0
	v_cmp_ne_u32_e32 vcc_lo, 0, v7
	s_or_b32 s15, vcc_lo, s15
	s_wait_xcnt 0x0
	s_and_not1_b32 exec_lo, exec_lo, s15
	s_cbranch_execnz .LBB4_35
; %bb.36:                               ;   in Loop: Header=BB4_34 Depth=1
	s_or_b32 exec_lo, exec_lo, s15
	v_subrev_nc_u32_e32 v7, s28, v17
	v_cmp_eq_u32_e32 vcc_lo, -1, v16
	global_inv scope:SCOPE_DEV
	s_mov_b32 s22, -1
	s_mov_b32 s15, exec_lo
	v_add_nc_u32_e32 v8, -1, v7
	s_delay_alu instid0(VALU_DEP_1)
	v_cndmask_b32_e32 v8, v16, v8, vcc_lo
	global_load_b32 v9, v8, s[8:9] scale_offset
	s_wait_loadcnt 0x0
	s_wait_xcnt 0x0
	v_cmpx_neq_f32_e32 0, v9
	s_cbranch_execz .LBB4_33
; %bb.37:                               ;   in Loop: Header=BB4_34 Depth=1
	v_div_scale_f32 v16, null, v9, v9, v15
	s_mov_b32 s22, exec_lo
	v_add_nc_u32_e32 v8, v14, v8
	v_rcp_f32_e32 v17, v16
	v_nop
	s_delay_alu instid0(TRANS32_DEP_1) | instskip(NEXT) | instid1(VALU_DEP_1)
	v_fma_f32 v18, -v16, v17, 1.0
	v_fmac_f32_e32 v17, v18, v17
	v_div_scale_f32 v18, vcc_lo, v15, v9, v15
	s_delay_alu instid0(VALU_DEP_1) | instskip(NEXT) | instid1(VALU_DEP_1)
	v_mul_f32_e32 v19, v18, v17
	v_fma_f32 v20, -v16, v19, v18
	s_delay_alu instid0(VALU_DEP_1) | instskip(NEXT) | instid1(VALU_DEP_1)
	v_fmac_f32_e32 v19, v20, v17
	v_fma_f32 v16, -v16, v19, v18
	s_delay_alu instid0(VALU_DEP_1) | instskip(NEXT) | instid1(VALU_DEP_1)
	v_div_fmas_f32 v16, v16, v17, v19
	v_div_fixup_f32 v15, v16, v9, v15
	global_store_b32 v[10:11], v15, off
	s_wait_xcnt 0x0
	v_cmpx_lt_i32_e64 v8, v7
	s_cbranch_execz .LBB4_32
; %bb.38:                               ;   in Loop: Header=BB4_34 Depth=1
	s_mov_b32 s23, 0
	s_branch .LBB4_40
.LBB4_39:                               ;   in Loop: Header=BB4_40 Depth=2
	s_wait_xcnt 0x0
	s_or_b32 exec_lo, exec_lo, s24
	v_add_nc_u32_e32 v8, 32, v8
	s_delay_alu instid0(VALU_DEP_1) | instskip(SKIP_1) | instid1(SALU_CYCLE_1)
	v_cmp_ge_i32_e32 vcc_lo, v8, v7
	s_or_b32 s23, vcc_lo, s23
	s_and_not1_b32 exec_lo, exec_lo, s23
	s_cbranch_execz .LBB4_32
.LBB4_40:                               ;   Parent Loop BB4_34 Depth=1
                                        ; =>  This Loop Header: Depth=2
                                        ;       Child Loop BB4_49 Depth 3
	global_load_b32 v10, v8, s[6:7] scale_offset
	v_ashrrev_i32_e32 v9, 31, v8
	v_mov_b32_e32 v11, 0x100
	s_mov_b32 s24, 0
                                        ; implicit-def: $sgpr25
                                        ; implicit-def: $sgpr26
                                        ; implicit-def: $sgpr27
	s_wait_loadcnt 0x0
	v_mul_lo_u32 v17, 0x67, v10
	s_branch .LBB4_49
.LBB4_41:                               ;   in Loop: Header=BB4_49 Depth=3
	s_or_b32 exec_lo, exec_lo, s41
	s_delay_alu instid0(SALU_CYCLE_1)
	s_or_not1_b32 s39, s39, exec_lo
	s_or_not1_b32 s40, s40, exec_lo
.LBB4_42:                               ;   in Loop: Header=BB4_49 Depth=3
	s_or_b32 exec_lo, exec_lo, s38
	s_delay_alu instid0(SALU_CYCLE_1)
	s_and_b32 s39, s39, exec_lo
	s_or_not1_b32 s38, s40, exec_lo
.LBB4_43:                               ;   in Loop: Header=BB4_49 Depth=3
	s_or_b32 exec_lo, exec_lo, s37
	s_delay_alu instid0(SALU_CYCLE_1)
	s_or_not1_b32 s37, s39, exec_lo
	s_or_not1_b32 s38, s38, exec_lo
.LBB4_44:                               ;   in Loop: Header=BB4_49 Depth=3
	s_or_b32 exec_lo, exec_lo, s36
	s_delay_alu instid0(SALU_CYCLE_1)
	s_and_b32 s37, s37, exec_lo
	s_or_not1_b32 s36, s38, exec_lo
.LBB4_45:                               ;   in Loop: Header=BB4_49 Depth=3
	s_or_b32 exec_lo, exec_lo, s35
	s_delay_alu instid0(SALU_CYCLE_1)
	s_or_not1_b32 s35, s37, exec_lo
	s_or_not1_b32 s36, s36, exec_lo
.LBB4_46:                               ;   in Loop: Header=BB4_49 Depth=3
	s_or_b32 exec_lo, exec_lo, s34
	s_delay_alu instid0(SALU_CYCLE_1)
	s_and_b32 s35, s35, exec_lo
	s_or_not1_b32 s34, s36, exec_lo
.LBB4_47:                               ;   in Loop: Header=BB4_49 Depth=3
	s_or_b32 exec_lo, exec_lo, s33
	s_delay_alu instid0(SALU_CYCLE_1)
	s_and_not1_b32 s27, s27, exec_lo
	s_and_b32 s33, s35, exec_lo
	s_and_not1_b32 s26, s26, exec_lo
	s_and_b32 s34, s34, exec_lo
	s_or_b32 s27, s27, s33
	s_or_b32 s26, s26, s34
.LBB4_48:                               ;   in Loop: Header=BB4_49 Depth=3
	s_or_b32 exec_lo, exec_lo, s31
	s_delay_alu instid0(SALU_CYCLE_1) | instskip(NEXT) | instid1(SALU_CYCLE_1)
	s_and_b32 s31, exec_lo, s26
	s_or_b32 s24, s31, s24
	s_and_not1_b32 s25, s25, exec_lo
	s_and_b32 s31, s27, exec_lo
	s_delay_alu instid0(SALU_CYCLE_1)
	s_or_b32 s25, s25, s31
	s_and_not1_b32 exec_lo, exec_lo, s24
	s_cbranch_execz .LBB4_58
.LBB4_49:                               ;   Parent Loop BB4_34 Depth=1
                                        ;     Parent Loop BB4_40 Depth=2
                                        ; =>    This Inner Loop Header: Depth=3
	s_delay_alu instid0(VALU_DEP_1) | instskip(SKIP_3) | instid1(VALU_DEP_1)
	v_and_b32_e32 v16, 0xff, v17
	s_or_b32 s27, s27, exec_lo
	s_or_b32 s26, s26, exec_lo
	s_mov_b32 s31, exec_lo
	v_lshl_add_u32 v18, v16, 2, v5
	ds_load_b32 v18, v18
	s_wait_dscnt 0x0
	s_wait_xcnt 0x0
	v_cmpx_ne_u32_e32 -1, v18
	s_cbranch_execz .LBB4_48
; %bb.50:                               ;   in Loop: Header=BB4_49 Depth=3
	s_mov_b32 s34, -1
	s_mov_b32 s35, 0
	s_mov_b32 s33, exec_lo
	v_cmpx_ne_u32_e64 v18, v10
	s_cbranch_execz .LBB4_47
; %bb.51:                               ;   in Loop: Header=BB4_49 Depth=3
	v_add_nc_u32_e32 v16, 1, v17
	s_mov_b32 s36, -1
	s_mov_b32 s35, -1
	s_mov_b32 s34, exec_lo
	s_delay_alu instid0(VALU_DEP_1) | instskip(NEXT) | instid1(VALU_DEP_1)
	v_and_b32_e32 v16, 0xff, v16
	v_lshl_add_u32 v18, v16, 2, v5
	ds_load_b32 v18, v18
	s_wait_dscnt 0x0
	v_cmpx_ne_u32_e32 -1, v18
	s_cbranch_execz .LBB4_46
; %bb.52:                               ;   in Loop: Header=BB4_49 Depth=3
	s_mov_b32 s37, 0
	s_mov_b32 s35, exec_lo
	v_cmpx_ne_u32_e64 v18, v10
	s_cbranch_execz .LBB4_45
; %bb.53:                               ;   in Loop: Header=BB4_49 Depth=3
	v_add_nc_u32_e32 v16, 2, v17
	s_mov_b32 s38, -1
	s_mov_b32 s37, -1
	s_mov_b32 s36, exec_lo
	s_delay_alu instid0(VALU_DEP_1) | instskip(NEXT) | instid1(VALU_DEP_1)
	v_and_b32_e32 v16, 0xff, v16
	v_lshl_add_u32 v18, v16, 2, v5
	ds_load_b32 v18, v18
	s_wait_dscnt 0x0
	v_cmpx_ne_u32_e32 -1, v18
	s_cbranch_execz .LBB4_44
; %bb.54:                               ;   in Loop: Header=BB4_49 Depth=3
	s_mov_b32 s39, 0
	s_mov_b32 s37, exec_lo
	v_cmpx_ne_u32_e64 v18, v10
	s_cbranch_execz .LBB4_43
; %bb.55:                               ;   in Loop: Header=BB4_49 Depth=3
	v_add_nc_u32_e32 v16, 3, v17
	s_mov_b32 s40, -1
	s_mov_b32 s39, -1
	s_mov_b32 s38, exec_lo
	s_delay_alu instid0(VALU_DEP_1) | instskip(NEXT) | instid1(VALU_DEP_1)
	v_and_b32_e32 v16, 0xff, v16
	v_lshl_add_u32 v17, v16, 2, v5
	ds_load_b32 v18, v17
                                        ; implicit-def: $vgpr17
	s_wait_dscnt 0x0
	v_cmpx_ne_u32_e32 -1, v18
	s_cbranch_execz .LBB4_42
; %bb.56:                               ;   in Loop: Header=BB4_49 Depth=3
	s_mov_b32 s39, 0
	s_mov_b32 s41, exec_lo
                                        ; implicit-def: $vgpr17
	v_cmpx_ne_u32_e64 v18, v10
	s_cbranch_execz .LBB4_41
; %bb.57:                               ;   in Loop: Header=BB4_49 Depth=3
	v_dual_add_nc_u32 v11, -4, v11 :: v_dual_add_nc_u32 v17, 1, v16
	s_mov_b32 s39, exec_lo
	s_delay_alu instid0(VALU_DEP_1)
	v_cmp_eq_u32_e32 vcc_lo, 0, v11
	s_or_not1_b32 s40, vcc_lo, exec_lo
	s_branch .LBB4_41
.LBB4_58:                               ;   in Loop: Header=BB4_40 Depth=2
	s_or_b32 exec_lo, exec_lo, s24
	s_xor_b32 s24, s25, -1
	s_delay_alu instid0(SALU_CYCLE_1) | instskip(NEXT) | instid1(SALU_CYCLE_1)
	s_and_saveexec_b32 s25, s24
	s_xor_b32 s24, exec_lo, s25
	s_cbranch_execz .LBB4_39
; %bb.59:                               ;   in Loop: Header=BB4_40 Depth=2
	v_lshl_add_u32 v10, v16, 2, v13
	ds_load_b32 v16, v10
	v_lshl_add_u64 v[10:11], v[8:9], 2, s[8:9]
	global_load_b32 v9, v[10:11], off
	s_wait_dscnt 0x0
	global_load_b32 v17, v16, s[8:9] scale_offset
	s_wait_loadcnt 0x0
	v_fma_f32 v9, -v15, v9, v17
	global_store_b32 v16, v9, s[8:9] scale_offset
	s_branch .LBB4_39
.LBB4_60:
	s_or_b32 exec_lo, exec_lo, s2
	s_mov_b32 s5, -1
	s_mov_b32 s4, exec_lo
	s_wait_storecnt 0x0
	v_cmpx_lt_i32_e32 -1, v4
	s_cbranch_execz .LBB4_76
; %bb.61:
	global_load_b32 v8, v4, s[8:9] scale_offset
	v_cmp_eq_u32_e64 s2, 0, v12
	s_wait_loadcnt 0x0
	v_cmp_gt_f32_e32 vcc_lo, 0, v8
	v_cndmask_b32_e64 v5, v8, -v8, vcc_lo
	s_and_not1_b32 vcc_lo, exec_lo, s29
	s_delay_alu instid0(VALU_DEP_1)
	v_cvt_f64_f32_e32 v[6:7], v5
	s_cbranch_vccnz .LBB4_65
; %bb.62:
	v_cvt_f64_f32_e32 v[10:11], s30
	s_cmp_eq_u64 s[20:21], 8
	s_cselect_b32 vcc_lo, -1, 0
	s_delay_alu instid0(VALU_DEP_1) | instskip(NEXT) | instid1(VALU_DEP_1)
	v_dual_cndmask_b32 v3, v11, v3 :: v_dual_cndmask_b32 v2, v10, v2
	v_cmp_ge_f64_e32 vcc_lo, v[2:3], v[6:7]
	s_and_b32 s6, s2, vcc_lo
	s_delay_alu instid0(SALU_CYCLE_1)
	s_and_saveexec_b32 s5, s6
	s_cbranch_execz .LBB4_64
; %bb.63:
	v_dual_mov_b32 v5, 0 :: v_dual_mov_b32 v9, s3
	s_delay_alu instid0(VALU_DEP_1)
	v_lshl_add_u64 v[2:3], v[4:5], 2, s[8:9]
	global_store_b32 v[2:3], v9, off
	global_wb scope:SCOPE_DEV
	s_wait_storecnt 0x0
	global_inv scope:SCOPE_DEV
.LBB4_64:
	s_wait_xcnt 0x0
	s_or_b32 exec_lo, exec_lo, s5
	s_mov_b32 s5, 0
.LBB4_65:
	s_delay_alu instid0(SALU_CYCLE_1)
	s_and_not1_b32 vcc_lo, exec_lo, s5
	s_cbranch_vccnz .LBB4_76
; %bb.66:
	s_load_b64 s[0:1], s[0:1], 0x48
	v_add_nc_u32_e32 v2, s28, v0
	s_wait_kmcnt 0x0
	s_delay_alu instid0(VALU_DEP_2) | instskip(SKIP_1) | instid1(SALU_CYCLE_1)
	v_cmp_ge_f64_e32 vcc_lo, s[0:1], v[6:7]
	s_and_b32 s1, s2, vcc_lo
	s_and_saveexec_b32 s0, s1
	s_cbranch_execz .LBB4_71
; %bb.67:
	s_mov_b32 s3, exec_lo
	s_brev_b32 s1, -2
.LBB4_68:                               ; =>This Inner Loop Header: Depth=1
	s_ctz_i32_b32 s5, s3
	s_delay_alu instid0(SALU_CYCLE_1) | instskip(SKIP_1) | instid1(SALU_CYCLE_1)
	v_readlane_b32 s6, v2, s5
	s_lshl_b32 s5, 1, s5
	s_and_not1_b32 s3, s3, s5
	s_min_i32 s1, s1, s6
	s_cmp_lg_u32 s3, 0
	s_cbranch_scc1 .LBB4_68
; %bb.69:
	v_mbcnt_lo_u32_b32 v3, exec_lo, 0
	s_mov_b32 s3, exec_lo
	s_delay_alu instid0(VALU_DEP_1)
	v_cmpx_eq_u32_e32 0, v3
	s_xor_b32 s3, exec_lo, s3
	s_cbranch_execz .LBB4_71
; %bb.70:
	v_dual_mov_b32 v3, 0 :: v_dual_mov_b32 v4, s1
	global_atomic_min_i32 v3, v4, s[18:19] scope:SCOPE_DEV
.LBB4_71:
	s_wait_xcnt 0x0
	s_or_b32 exec_lo, exec_lo, s0
	v_cmp_eq_f32_e32 vcc_lo, 0, v8
	s_and_b32 s0, s2, vcc_lo
	s_delay_alu instid0(SALU_CYCLE_1)
	s_and_b32 exec_lo, exec_lo, s0
	s_cbranch_execz .LBB4_76
; %bb.72:
	s_mov_b32 s1, exec_lo
	s_brev_b32 s0, -2
.LBB4_73:                               ; =>This Inner Loop Header: Depth=1
	s_ctz_i32_b32 s2, s1
	s_delay_alu instid0(SALU_CYCLE_1) | instskip(SKIP_1) | instid1(SALU_CYCLE_1)
	v_readlane_b32 s3, v2, s2
	s_lshl_b32 s2, 1, s2
	s_and_not1_b32 s1, s1, s2
	s_min_i32 s0, s0, s3
	s_cmp_lg_u32 s1, 0
	s_cbranch_scc1 .LBB4_73
; %bb.74:
	v_mbcnt_lo_u32_b32 v2, exec_lo, 0
	s_mov_b32 s1, exec_lo
	s_delay_alu instid0(VALU_DEP_1)
	v_cmpx_eq_u32_e32 0, v2
	s_xor_b32 s1, exec_lo, s1
	s_cbranch_execz .LBB4_76
; %bb.75:
	v_dual_mov_b32 v2, 0 :: v_dual_mov_b32 v3, s0
	global_atomic_min_i32 v2, v3, s[16:17] scope:SCOPE_DEV
.LBB4_76:
	s_wait_xcnt 0x0
	s_or_b32 exec_lo, exec_lo, s4
	v_cmp_eq_u32_e32 vcc_lo, 0, v12
	global_wb scope:SCOPE_DEV
	s_wait_loadcnt 0x0
	s_wait_storecnt 0x0
	global_inv scope:SCOPE_DEV
	s_and_b32 exec_lo, exec_lo, vcc_lo
	s_cbranch_execz .LBB4_78
; %bb.77:
	v_lshl_add_u64 v[0:1], v[0:1], 2, s[12:13]
	v_mov_b32_e32 v2, 1
	global_wb scope:SCOPE_DEV
	s_wait_loadcnt 0x0
	s_wait_storecnt 0x0
	global_store_b32 v[0:1], v2, off scope:SCOPE_DEV
.LBB4_78:
	s_endpgm
	.section	.rodata,"a",@progbits
	.p2align	6, 0x0
	.amdhsa_kernel _ZN9rocsparseL12csrilu0_hashILj256ELj32ELj8EfEEviPKiS2_PT2_S2_PiS2_S5_S5_d21rocsparse_index_base_imNS_24const_host_device_scalarIfEENS7_IdEENS7_IS3_EEb
		.amdhsa_group_segment_fixed_size 16384
		.amdhsa_private_segment_fixed_size 0
		.amdhsa_kernarg_size 124
		.amdhsa_user_sgpr_count 2
		.amdhsa_user_sgpr_dispatch_ptr 0
		.amdhsa_user_sgpr_queue_ptr 0
		.amdhsa_user_sgpr_kernarg_segment_ptr 1
		.amdhsa_user_sgpr_dispatch_id 0
		.amdhsa_user_sgpr_kernarg_preload_length 0
		.amdhsa_user_sgpr_kernarg_preload_offset 0
		.amdhsa_user_sgpr_private_segment_size 0
		.amdhsa_wavefront_size32 1
		.amdhsa_uses_dynamic_stack 0
		.amdhsa_enable_private_segment 0
		.amdhsa_system_sgpr_workgroup_id_x 1
		.amdhsa_system_sgpr_workgroup_id_y 0
		.amdhsa_system_sgpr_workgroup_id_z 0
		.amdhsa_system_sgpr_workgroup_info 0
		.amdhsa_system_vgpr_workitem_id 0
		.amdhsa_next_free_vgpr 21
		.amdhsa_next_free_sgpr 42
		.amdhsa_named_barrier_count 0
		.amdhsa_reserve_vcc 1
		.amdhsa_float_round_mode_32 0
		.amdhsa_float_round_mode_16_64 0
		.amdhsa_float_denorm_mode_32 3
		.amdhsa_float_denorm_mode_16_64 3
		.amdhsa_fp16_overflow 0
		.amdhsa_memory_ordered 1
		.amdhsa_forward_progress 1
		.amdhsa_inst_pref_size 23
		.amdhsa_round_robin_scheduling 0
		.amdhsa_exception_fp_ieee_invalid_op 0
		.amdhsa_exception_fp_denorm_src 0
		.amdhsa_exception_fp_ieee_div_zero 0
		.amdhsa_exception_fp_ieee_overflow 0
		.amdhsa_exception_fp_ieee_underflow 0
		.amdhsa_exception_fp_ieee_inexact 0
		.amdhsa_exception_int_div_zero 0
	.end_amdhsa_kernel
	.section	.text._ZN9rocsparseL12csrilu0_hashILj256ELj32ELj8EfEEviPKiS2_PT2_S2_PiS2_S5_S5_d21rocsparse_index_base_imNS_24const_host_device_scalarIfEENS7_IdEENS7_IS3_EEb,"axG",@progbits,_ZN9rocsparseL12csrilu0_hashILj256ELj32ELj8EfEEviPKiS2_PT2_S2_PiS2_S5_S5_d21rocsparse_index_base_imNS_24const_host_device_scalarIfEENS7_IdEENS7_IS3_EEb,comdat
.Lfunc_end4:
	.size	_ZN9rocsparseL12csrilu0_hashILj256ELj32ELj8EfEEviPKiS2_PT2_S2_PiS2_S5_S5_d21rocsparse_index_base_imNS_24const_host_device_scalarIfEENS7_IdEENS7_IS3_EEb, .Lfunc_end4-_ZN9rocsparseL12csrilu0_hashILj256ELj32ELj8EfEEviPKiS2_PT2_S2_PiS2_S5_S5_d21rocsparse_index_base_imNS_24const_host_device_scalarIfEENS7_IdEENS7_IS3_EEb
                                        ; -- End function
	.set _ZN9rocsparseL12csrilu0_hashILj256ELj32ELj8EfEEviPKiS2_PT2_S2_PiS2_S5_S5_d21rocsparse_index_base_imNS_24const_host_device_scalarIfEENS7_IdEENS7_IS3_EEb.num_vgpr, 21
	.set _ZN9rocsparseL12csrilu0_hashILj256ELj32ELj8EfEEviPKiS2_PT2_S2_PiS2_S5_S5_d21rocsparse_index_base_imNS_24const_host_device_scalarIfEENS7_IdEENS7_IS3_EEb.num_agpr, 0
	.set _ZN9rocsparseL12csrilu0_hashILj256ELj32ELj8EfEEviPKiS2_PT2_S2_PiS2_S5_S5_d21rocsparse_index_base_imNS_24const_host_device_scalarIfEENS7_IdEENS7_IS3_EEb.numbered_sgpr, 42
	.set _ZN9rocsparseL12csrilu0_hashILj256ELj32ELj8EfEEviPKiS2_PT2_S2_PiS2_S5_S5_d21rocsparse_index_base_imNS_24const_host_device_scalarIfEENS7_IdEENS7_IS3_EEb.num_named_barrier, 0
	.set _ZN9rocsparseL12csrilu0_hashILj256ELj32ELj8EfEEviPKiS2_PT2_S2_PiS2_S5_S5_d21rocsparse_index_base_imNS_24const_host_device_scalarIfEENS7_IdEENS7_IS3_EEb.private_seg_size, 0
	.set _ZN9rocsparseL12csrilu0_hashILj256ELj32ELj8EfEEviPKiS2_PT2_S2_PiS2_S5_S5_d21rocsparse_index_base_imNS_24const_host_device_scalarIfEENS7_IdEENS7_IS3_EEb.uses_vcc, 1
	.set _ZN9rocsparseL12csrilu0_hashILj256ELj32ELj8EfEEviPKiS2_PT2_S2_PiS2_S5_S5_d21rocsparse_index_base_imNS_24const_host_device_scalarIfEENS7_IdEENS7_IS3_EEb.uses_flat_scratch, 0
	.set _ZN9rocsparseL12csrilu0_hashILj256ELj32ELj8EfEEviPKiS2_PT2_S2_PiS2_S5_S5_d21rocsparse_index_base_imNS_24const_host_device_scalarIfEENS7_IdEENS7_IS3_EEb.has_dyn_sized_stack, 0
	.set _ZN9rocsparseL12csrilu0_hashILj256ELj32ELj8EfEEviPKiS2_PT2_S2_PiS2_S5_S5_d21rocsparse_index_base_imNS_24const_host_device_scalarIfEENS7_IdEENS7_IS3_EEb.has_recursion, 0
	.set _ZN9rocsparseL12csrilu0_hashILj256ELj32ELj8EfEEviPKiS2_PT2_S2_PiS2_S5_S5_d21rocsparse_index_base_imNS_24const_host_device_scalarIfEENS7_IdEENS7_IS3_EEb.has_indirect_call, 0
	.section	.AMDGPU.csdata,"",@progbits
; Kernel info:
; codeLenInByte = 2824
; TotalNumSgprs: 44
; NumVgprs: 21
; ScratchSize: 0
; MemoryBound: 0
; FloatMode: 240
; IeeeMode: 1
; LDSByteSize: 16384 bytes/workgroup (compile time only)
; SGPRBlocks: 0
; VGPRBlocks: 1
; NumSGPRsForWavesPerEU: 44
; NumVGPRsForWavesPerEU: 21
; NamedBarCnt: 0
; Occupancy: 16
; WaveLimiterHint : 1
; COMPUTE_PGM_RSRC2:SCRATCH_EN: 0
; COMPUTE_PGM_RSRC2:USER_SGPR: 2
; COMPUTE_PGM_RSRC2:TRAP_HANDLER: 0
; COMPUTE_PGM_RSRC2:TGID_X_EN: 1
; COMPUTE_PGM_RSRC2:TGID_Y_EN: 0
; COMPUTE_PGM_RSRC2:TGID_Z_EN: 0
; COMPUTE_PGM_RSRC2:TIDIG_COMP_CNT: 0
	.section	.text._ZN9rocsparseL12csrilu0_hashILj256ELj32ELj16EfEEviPKiS2_PT2_S2_PiS2_S5_S5_d21rocsparse_index_base_imNS_24const_host_device_scalarIfEENS7_IdEENS7_IS3_EEb,"axG",@progbits,_ZN9rocsparseL12csrilu0_hashILj256ELj32ELj16EfEEviPKiS2_PT2_S2_PiS2_S5_S5_d21rocsparse_index_base_imNS_24const_host_device_scalarIfEENS7_IdEENS7_IS3_EEb,comdat
	.globl	_ZN9rocsparseL12csrilu0_hashILj256ELj32ELj16EfEEviPKiS2_PT2_S2_PiS2_S5_S5_d21rocsparse_index_base_imNS_24const_host_device_scalarIfEENS7_IdEENS7_IS3_EEb ; -- Begin function _ZN9rocsparseL12csrilu0_hashILj256ELj32ELj16EfEEviPKiS2_PT2_S2_PiS2_S5_S5_d21rocsparse_index_base_imNS_24const_host_device_scalarIfEENS7_IdEENS7_IS3_EEb
	.p2align	8
	.type	_ZN9rocsparseL12csrilu0_hashILj256ELj32ELj16EfEEviPKiS2_PT2_S2_PiS2_S5_S5_d21rocsparse_index_base_imNS_24const_host_device_scalarIfEENS7_IdEENS7_IS3_EEb,@function
_ZN9rocsparseL12csrilu0_hashILj256ELj32ELj16EfEEviPKiS2_PT2_S2_PiS2_S5_S5_d21rocsparse_index_base_imNS_24const_host_device_scalarIfEENS7_IdEENS7_IS3_EEb: ; @_ZN9rocsparseL12csrilu0_hashILj256ELj32ELj16EfEEviPKiS2_PT2_S2_PiS2_S5_S5_d21rocsparse_index_base_imNS_24const_host_device_scalarIfEENS7_IdEENS7_IS3_EEb
; %bb.0:
	s_clause 0x2
	s_load_b32 s2, s[0:1], 0x78
	s_load_b64 s[28:29], s[0:1], 0x50
	s_load_b256 s[20:27], s[0:1], 0x58
	s_wait_kmcnt 0x0
	s_bitcmp1_b32 s2, 0
	s_cselect_b32 s2, -1, 0
	s_cmp_eq_u32 s29, 0
	s_cselect_b32 s4, -1, 0
	s_cmp_lg_u32 s29, 0
	s_cselect_b32 s29, -1, 0
	s_or_b32 s6, s4, s2
	s_delay_alu instid0(SALU_CYCLE_1)
	s_xor_b32 s5, s6, -1
	s_and_b32 s2, s4, exec_lo
	s_cselect_b32 s3, 0, s25
	s_cselect_b32 s2, 0, s24
	;; [unrolled: 1-line block ×3, first 2 shown]
	s_and_b32 vcc_lo, exec_lo, s6
	s_cbranch_vccnz .LBB5_2
; %bb.1:
	s_load_b32 s30, s[22:23], 0x0
	s_mov_b64 s[2:3], s[24:25]
.LBB5_2:
	s_delay_alu instid0(SALU_CYCLE_1)
	v_mov_b64_e32 v[4:5], s[2:3]
	v_cndmask_b32_e64 v1, 0, 1, s5
	s_and_not1_b32 vcc_lo, exec_lo, s5
	s_cbranch_vccnz .LBB5_4
; %bb.3:
	v_mov_b32_e32 v2, 0
	flat_load_b64 v[4:5], v2, s[24:25]
.LBB5_4:
	s_delay_alu instid0(VALU_DEP_1)
	v_cmp_ne_u32_e32 vcc_lo, 1, v1
	s_and_b32 s2, s4, exec_lo
	s_cselect_b32 s3, 0, s26
	s_mov_b32 s2, 0
	s_cbranch_vccnz .LBB5_6
; %bb.5:
	s_load_b32 s3, s[26:27], 0x0
.LBB5_6:
	v_dual_lshrrev_b32 v1, 5, v0 :: v_dual_bitop2_b32 v12, 31, v0 bitop3:0x40
	s_delay_alu instid0(VALU_DEP_1) | instskip(SKIP_2) | instid1(VALU_DEP_2)
	v_dual_lshlrev_b32 v3, 11, v1 :: v_dual_lshlrev_b32 v6, 2, v12
	s_wait_xcnt 0x0
	v_or_b32_e32 v2, 0xffffffe0, v12
	v_or3_b32 v3, v3, v6, 0x4000
	v_mov_b32_e32 v6, -1
.LBB5_7:                                ; =>This Inner Loop Header: Depth=1
	s_delay_alu instid0(VALU_DEP_3) | instskip(SKIP_4) | instid1(SALU_CYCLE_1)
	v_add_nc_u32_e32 v2, 32, v2
	ds_store_b32 v3, v6
	v_add_nc_u32_e32 v3, 0x80, v3
	v_cmp_lt_u32_e32 vcc_lo, 0x1df, v2
	s_or_b32 s2, vcc_lo, s2
	s_and_not1_b32 exec_lo, exec_lo, s2
	s_cbranch_execnz .LBB5_7
; %bb.8:
	s_or_b32 exec_lo, exec_lo, s2
	s_load_b32 s2, s[0:1], 0x0
	s_bfe_u32 s4, ttmp6, 0x4000c
	s_and_b32 s5, ttmp6, 15
	s_add_co_i32 s4, s4, 1
	s_getreg_b32 s6, hwreg(HW_REG_IB_STS2, 6, 4)
	s_mul_i32 s4, ttmp9, s4
	s_wait_loadcnt_dscnt 0x0
	s_add_co_i32 s5, s5, s4
	s_cmp_eq_u32 s6, 0
	s_cselect_b32 s4, ttmp9, s5
	s_delay_alu instid0(SALU_CYCLE_1) | instskip(NEXT) | instid1(SALU_CYCLE_1)
	s_lshl_b32 s4, s4, 3
	v_and_or_b32 v1, 0x7fffff8, s4, v1
	s_wait_kmcnt 0x0
	s_delay_alu instid0(VALU_DEP_1)
	v_cmp_gt_i32_e32 vcc_lo, s2, v1
	s_and_saveexec_b32 s2, vcc_lo
	s_cbranch_execz .LBB5_80
; %bb.9:
	s_load_b512 s[4:19], s[0:1], 0x8
	s_mov_b32 s2, exec_lo
	s_wait_kmcnt 0x0
	global_load_b32 v2, v1, s[14:15] scale_offset
	s_wait_xcnt 0x0
	v_lshlrev_b32_e32 v1, 6, v0
	s_delay_alu instid0(VALU_DEP_1) | instskip(NEXT) | instid1(VALU_DEP_1)
	v_and_b32_e32 v7, 0x3800, v1
	v_or_b32_e32 v13, 0x4000, v7
	s_wait_loadcnt 0x0
	v_ashrrev_i32_e32 v3, 31, v2
	s_delay_alu instid0(VALU_DEP_1)
	v_lshl_add_u64 v[8:9], v[2:3], 2, s[4:5]
	global_load_b64 v[10:11], v[8:9], off
	global_load_b32 v6, v2, s[10:11] scale_offset
	s_wait_loadcnt 0x1
	v_subrev_nc_u32_e32 v0, s28, v10
	v_subrev_nc_u32_e32 v1, s28, v11
	s_delay_alu instid0(VALU_DEP_2) | instskip(SKIP_1) | instid1(VALU_DEP_1)
	v_add_nc_u32_e32 v8, v0, v12
	s_wait_xcnt 0x0
	v_cmpx_lt_i32_e64 v8, v1
	s_cbranch_execz .LBB5_32
; %bb.10:
	v_mov_b32_e32 v9, -1
	s_mov_b32 s14, 0
	s_branch .LBB5_12
.LBB5_11:                               ;   in Loop: Header=BB5_12 Depth=1
	s_or_b32 exec_lo, exec_lo, s15
	v_add_nc_u32_e32 v8, 32, v8
	s_delay_alu instid0(VALU_DEP_1) | instskip(SKIP_1) | instid1(SALU_CYCLE_1)
	v_cmp_ge_i32_e32 vcc_lo, v8, v1
	s_or_b32 s14, vcc_lo, s14
	s_and_not1_b32 exec_lo, exec_lo, s14
	s_cbranch_execz .LBB5_32
.LBB5_12:                               ; =>This Loop Header: Depth=1
                                        ;     Child Loop BB5_21 Depth 2
	global_load_b32 v10, v8, s[6:7] scale_offset
	v_mov_b32_e32 v11, 0x200
	s_mov_b32 s15, 0
                                        ; implicit-def: $sgpr22
                                        ; implicit-def: $sgpr23
                                        ; implicit-def: $sgpr24
	s_wait_loadcnt 0x0
	v_mul_lo_u32 v15, 0x67, v10
	s_branch .LBB5_21
.LBB5_13:                               ;   in Loop: Header=BB5_21 Depth=2
	s_or_b32 exec_lo, exec_lo, s38
	s_delay_alu instid0(SALU_CYCLE_1)
	s_or_not1_b32 s36, s36, exec_lo
	s_or_not1_b32 s37, s37, exec_lo
.LBB5_14:                               ;   in Loop: Header=BB5_21 Depth=2
	s_or_b32 exec_lo, exec_lo, s35
	s_delay_alu instid0(SALU_CYCLE_1)
	s_and_b32 s36, s36, exec_lo
	s_or_not1_b32 s35, s37, exec_lo
.LBB5_15:                               ;   in Loop: Header=BB5_21 Depth=2
	s_or_b32 exec_lo, exec_lo, s34
	s_delay_alu instid0(SALU_CYCLE_1)
	s_or_not1_b32 s34, s36, exec_lo
	s_or_not1_b32 s35, s35, exec_lo
.LBB5_16:                               ;   in Loop: Header=BB5_21 Depth=2
	s_or_b32 exec_lo, exec_lo, s33
	s_delay_alu instid0(SALU_CYCLE_1)
	s_and_b32 s34, s34, exec_lo
	s_or_not1_b32 s33, s35, exec_lo
.LBB5_17:                               ;   in Loop: Header=BB5_21 Depth=2
	s_or_b32 exec_lo, exec_lo, s31
	s_delay_alu instid0(SALU_CYCLE_1)
	s_or_not1_b32 s31, s34, exec_lo
	s_or_not1_b32 s33, s33, exec_lo
.LBB5_18:                               ;   in Loop: Header=BB5_21 Depth=2
	s_or_b32 exec_lo, exec_lo, s27
	s_delay_alu instid0(SALU_CYCLE_1)
	s_and_b32 s31, s31, exec_lo
	s_or_not1_b32 s27, s33, exec_lo
.LBB5_19:                               ;   in Loop: Header=BB5_21 Depth=2
	s_or_b32 exec_lo, exec_lo, s26
	s_delay_alu instid0(SALU_CYCLE_1)
	s_and_not1_b32 s24, s24, exec_lo
	s_and_b32 s26, s31, exec_lo
	s_and_not1_b32 s23, s23, exec_lo
	s_and_b32 s27, s27, exec_lo
	s_or_b32 s24, s24, s26
	s_or_b32 s23, s23, s27
.LBB5_20:                               ;   in Loop: Header=BB5_21 Depth=2
	s_or_b32 exec_lo, exec_lo, s25
	s_delay_alu instid0(SALU_CYCLE_1) | instskip(NEXT) | instid1(SALU_CYCLE_1)
	s_and_b32 s25, exec_lo, s23
	s_or_b32 s15, s25, s15
	s_and_not1_b32 s22, s22, exec_lo
	s_and_b32 s25, s24, exec_lo
	s_delay_alu instid0(SALU_CYCLE_1)
	s_or_b32 s22, s22, s25
	s_and_not1_b32 exec_lo, exec_lo, s15
	s_cbranch_execz .LBB5_30
.LBB5_21:                               ;   Parent Loop BB5_12 Depth=1
                                        ; =>  This Inner Loop Header: Depth=2
	s_delay_alu instid0(VALU_DEP_1) | instskip(SKIP_3) | instid1(VALU_DEP_1)
	v_and_b32_e32 v14, 0x1ff, v15
	s_or_b32 s24, s24, exec_lo
	s_or_b32 s23, s23, exec_lo
	s_mov_b32 s25, exec_lo
	v_lshl_add_u32 v16, v14, 2, v13
	ds_load_b32 v17, v16
	s_wait_dscnt 0x0
	s_wait_xcnt 0x0
	v_cmpx_ne_u32_e64 v17, v10
	s_cbranch_execz .LBB5_20
; %bb.22:                               ;   in Loop: Header=BB5_21 Depth=2
	ds_cmpstore_rtn_b32 v16, v16, v10, v9
	s_mov_b32 s27, -1
	s_mov_b32 s31, 0
	s_mov_b32 s26, exec_lo
	s_wait_dscnt 0x0
	v_cmpx_ne_u32_e32 -1, v16
	s_cbranch_execz .LBB5_19
; %bb.23:                               ;   in Loop: Header=BB5_21 Depth=2
	v_add_nc_u32_e32 v14, 1, v15
	s_mov_b32 s33, -1
	s_mov_b32 s31, -1
	s_mov_b32 s27, exec_lo
	s_delay_alu instid0(VALU_DEP_1) | instskip(NEXT) | instid1(VALU_DEP_1)
	v_and_b32_e32 v14, 0x1ff, v14
	v_lshl_add_u32 v16, v14, 2, v13
	ds_load_b32 v17, v16
	s_wait_dscnt 0x0
	v_cmpx_ne_u32_e64 v17, v10
	s_cbranch_execz .LBB5_18
; %bb.24:                               ;   in Loop: Header=BB5_21 Depth=2
	ds_cmpstore_rtn_b32 v16, v16, v10, v9
	s_mov_b32 s34, 0
	s_mov_b32 s31, exec_lo
	s_wait_dscnt 0x0
	v_cmpx_ne_u32_e32 -1, v16
	s_cbranch_execz .LBB5_17
; %bb.25:                               ;   in Loop: Header=BB5_21 Depth=2
	v_add_nc_u32_e32 v14, 2, v15
	s_mov_b32 s35, -1
	s_mov_b32 s34, -1
	s_mov_b32 s33, exec_lo
	s_delay_alu instid0(VALU_DEP_1) | instskip(NEXT) | instid1(VALU_DEP_1)
	v_and_b32_e32 v14, 0x1ff, v14
	v_lshl_add_u32 v16, v14, 2, v13
	ds_load_b32 v17, v16
	s_wait_dscnt 0x0
	v_cmpx_ne_u32_e64 v17, v10
	s_cbranch_execz .LBB5_16
; %bb.26:                               ;   in Loop: Header=BB5_21 Depth=2
	ds_cmpstore_rtn_b32 v16, v16, v10, v9
	s_mov_b32 s36, 0
	s_mov_b32 s34, exec_lo
	s_wait_dscnt 0x0
	v_cmpx_ne_u32_e32 -1, v16
	s_cbranch_execz .LBB5_15
; %bb.27:                               ;   in Loop: Header=BB5_21 Depth=2
	v_add_nc_u32_e32 v14, 3, v15
	s_mov_b32 s37, -1
	s_mov_b32 s36, -1
	s_delay_alu instid0(VALU_DEP_1) | instskip(NEXT) | instid1(VALU_DEP_1)
	v_and_b32_e32 v14, 0x1ff, v14
	v_lshl_add_u32 v16, v14, 2, v13
	ds_load_b32 v15, v16
	s_wait_dscnt 0x0
	v_cmp_ne_u32_e32 vcc_lo, v15, v10
                                        ; implicit-def: $vgpr15
	s_and_saveexec_b32 s35, vcc_lo
	s_cbranch_execz .LBB5_14
; %bb.28:                               ;   in Loop: Header=BB5_21 Depth=2
	ds_cmpstore_rtn_b32 v15, v16, v10, v9
	s_mov_b32 s36, 0
	s_wait_dscnt 0x0
	v_cmp_ne_u32_e32 vcc_lo, -1, v15
                                        ; implicit-def: $vgpr15
	s_and_saveexec_b32 s38, vcc_lo
	s_cbranch_execz .LBB5_13
; %bb.29:                               ;   in Loop: Header=BB5_21 Depth=2
	v_dual_add_nc_u32 v11, -4, v11 :: v_dual_add_nc_u32 v15, 1, v14
	s_mov_b32 s36, exec_lo
	s_delay_alu instid0(VALU_DEP_1)
	v_cmp_eq_u32_e32 vcc_lo, 0, v11
	s_or_not1_b32 s37, vcc_lo, exec_lo
	s_branch .LBB5_13
.LBB5_30:                               ;   in Loop: Header=BB5_12 Depth=1
	s_or_b32 exec_lo, exec_lo, s15
	s_xor_b32 s15, s22, -1
	s_delay_alu instid0(SALU_CYCLE_1) | instskip(NEXT) | instid1(SALU_CYCLE_1)
	s_and_saveexec_b32 s22, s15
	s_xor_b32 s15, exec_lo, s22
	s_cbranch_execz .LBB5_11
; %bb.31:                               ;   in Loop: Header=BB5_12 Depth=1
	v_lshl_add_u32 v10, v14, 2, v7
	ds_store_b32 v10, v8
	s_branch .LBB5_11
.LBB5_32:
	s_or_b32 exec_lo, exec_lo, s2
	s_delay_alu instid0(SALU_CYCLE_1)
	s_mov_b32 s2, exec_lo
	s_wait_loadcnt_dscnt 0x0
	v_cmpx_lt_i32_e64 v0, v6
	s_cbranch_execz .LBB5_62
; %bb.33:
	v_add_nc_u32_e32 v14, 1, v12
	s_mov_b32 s14, 0
	s_branch .LBB5_36
.LBB5_34:                               ;   in Loop: Header=BB5_36 Depth=1
	s_or_b32 exec_lo, exec_lo, s22
	v_add_nc_u32_e32 v0, 1, v0
	s_delay_alu instid0(VALU_DEP_1)
	v_cmp_ge_i32_e32 vcc_lo, v0, v6
	s_or_not1_b32 s22, vcc_lo, exec_lo
.LBB5_35:                               ;   in Loop: Header=BB5_36 Depth=1
	s_or_b32 exec_lo, exec_lo, s15
	s_delay_alu instid0(SALU_CYCLE_1) | instskip(NEXT) | instid1(SALU_CYCLE_1)
	s_and_b32 s15, exec_lo, s22
	s_or_b32 s14, s15, s14
	s_delay_alu instid0(SALU_CYCLE_1)
	s_and_not1_b32 exec_lo, exec_lo, s14
	s_cbranch_execz .LBB5_62
.LBB5_36:                               ; =>This Loop Header: Depth=1
                                        ;     Child Loop BB5_37 Depth 2
                                        ;     Child Loop BB5_42 Depth 2
                                        ;       Child Loop BB5_51 Depth 3
	s_clause 0x1
	global_load_b32 v1, v0, s[6:7] scale_offset
	global_load_b32 v15, v0, s[8:9] scale_offset
	s_mov_b32 s15, 0
	s_wait_loadcnt 0x1
	v_subrev_nc_u32_e32 v8, s28, v1
	v_ashrrev_i32_e32 v1, 31, v0
	s_clause 0x1
	global_load_b32 v17, v8, s[4:5] offset:4 scale_offset
	global_load_b32 v16, v8, s[10:11] scale_offset
	v_ashrrev_i32_e32 v9, 31, v8
	v_lshl_add_u64 v[10:11], v[0:1], 2, s[8:9]
	s_wait_xcnt 0x0
	s_delay_alu instid0(VALU_DEP_2)
	v_lshl_add_u64 v[8:9], v[8:9], 2, s[12:13]
.LBB5_37:                               ;   Parent Loop BB5_36 Depth=1
                                        ; =>  This Inner Loop Header: Depth=2
	global_load_b32 v1, v[8:9], off scope:SCOPE_DEV
	s_wait_loadcnt 0x0
	v_cmp_ne_u32_e32 vcc_lo, 0, v1
	s_or_b32 s15, vcc_lo, s15
	s_wait_xcnt 0x0
	s_and_not1_b32 exec_lo, exec_lo, s15
	s_cbranch_execnz .LBB5_37
; %bb.38:                               ;   in Loop: Header=BB5_36 Depth=1
	s_or_b32 exec_lo, exec_lo, s15
	v_subrev_nc_u32_e32 v1, s28, v17
	v_cmp_eq_u32_e32 vcc_lo, -1, v16
	global_inv scope:SCOPE_DEV
	s_mov_b32 s22, -1
	s_mov_b32 s15, exec_lo
	v_add_nc_u32_e32 v8, -1, v1
	s_delay_alu instid0(VALU_DEP_1)
	v_cndmask_b32_e32 v8, v16, v8, vcc_lo
	global_load_b32 v9, v8, s[8:9] scale_offset
	s_wait_loadcnt 0x0
	s_wait_xcnt 0x0
	v_cmpx_neq_f32_e32 0, v9
	s_cbranch_execz .LBB5_35
; %bb.39:                               ;   in Loop: Header=BB5_36 Depth=1
	v_div_scale_f32 v16, null, v9, v9, v15
	s_mov_b32 s22, exec_lo
	v_add_nc_u32_e32 v8, v14, v8
	v_rcp_f32_e32 v17, v16
	v_nop
	s_delay_alu instid0(TRANS32_DEP_1) | instskip(NEXT) | instid1(VALU_DEP_1)
	v_fma_f32 v18, -v16, v17, 1.0
	v_fmac_f32_e32 v17, v18, v17
	v_div_scale_f32 v18, vcc_lo, v15, v9, v15
	s_delay_alu instid0(VALU_DEP_1) | instskip(NEXT) | instid1(VALU_DEP_1)
	v_mul_f32_e32 v19, v18, v17
	v_fma_f32 v20, -v16, v19, v18
	s_delay_alu instid0(VALU_DEP_1) | instskip(NEXT) | instid1(VALU_DEP_1)
	v_fmac_f32_e32 v19, v20, v17
	v_fma_f32 v16, -v16, v19, v18
	s_delay_alu instid0(VALU_DEP_1) | instskip(NEXT) | instid1(VALU_DEP_1)
	v_div_fmas_f32 v16, v16, v17, v19
	v_div_fixup_f32 v15, v16, v9, v15
	global_store_b32 v[10:11], v15, off
	s_wait_xcnt 0x0
	v_cmpx_lt_i32_e64 v8, v1
	s_cbranch_execz .LBB5_34
; %bb.40:                               ;   in Loop: Header=BB5_36 Depth=1
	s_mov_b32 s23, 0
	s_branch .LBB5_42
.LBB5_41:                               ;   in Loop: Header=BB5_42 Depth=2
	s_wait_xcnt 0x0
	s_or_b32 exec_lo, exec_lo, s24
	v_add_nc_u32_e32 v8, 32, v8
	s_delay_alu instid0(VALU_DEP_1) | instskip(SKIP_1) | instid1(SALU_CYCLE_1)
	v_cmp_ge_i32_e32 vcc_lo, v8, v1
	s_or_b32 s23, vcc_lo, s23
	s_and_not1_b32 exec_lo, exec_lo, s23
	s_cbranch_execz .LBB5_34
.LBB5_42:                               ;   Parent Loop BB5_36 Depth=1
                                        ; =>  This Loop Header: Depth=2
                                        ;       Child Loop BB5_51 Depth 3
	global_load_b32 v10, v8, s[6:7] scale_offset
	v_ashrrev_i32_e32 v9, 31, v8
	v_mov_b32_e32 v11, 0x200
	s_mov_b32 s24, 0
                                        ; implicit-def: $sgpr25
                                        ; implicit-def: $sgpr26
                                        ; implicit-def: $sgpr27
	s_wait_loadcnt 0x0
	v_mul_lo_u32 v17, 0x67, v10
	s_branch .LBB5_51
.LBB5_43:                               ;   in Loop: Header=BB5_51 Depth=3
	s_or_b32 exec_lo, exec_lo, s41
	s_delay_alu instid0(SALU_CYCLE_1)
	s_or_not1_b32 s39, s39, exec_lo
	s_or_not1_b32 s40, s40, exec_lo
.LBB5_44:                               ;   in Loop: Header=BB5_51 Depth=3
	s_or_b32 exec_lo, exec_lo, s38
	s_delay_alu instid0(SALU_CYCLE_1)
	s_and_b32 s39, s39, exec_lo
	s_or_not1_b32 s38, s40, exec_lo
.LBB5_45:                               ;   in Loop: Header=BB5_51 Depth=3
	s_or_b32 exec_lo, exec_lo, s37
	s_delay_alu instid0(SALU_CYCLE_1)
	s_or_not1_b32 s37, s39, exec_lo
	s_or_not1_b32 s38, s38, exec_lo
.LBB5_46:                               ;   in Loop: Header=BB5_51 Depth=3
	s_or_b32 exec_lo, exec_lo, s36
	s_delay_alu instid0(SALU_CYCLE_1)
	s_and_b32 s37, s37, exec_lo
	s_or_not1_b32 s36, s38, exec_lo
.LBB5_47:                               ;   in Loop: Header=BB5_51 Depth=3
	s_or_b32 exec_lo, exec_lo, s35
	s_delay_alu instid0(SALU_CYCLE_1)
	s_or_not1_b32 s35, s37, exec_lo
	s_or_not1_b32 s36, s36, exec_lo
.LBB5_48:                               ;   in Loop: Header=BB5_51 Depth=3
	s_or_b32 exec_lo, exec_lo, s34
	s_delay_alu instid0(SALU_CYCLE_1)
	s_and_b32 s35, s35, exec_lo
	s_or_not1_b32 s34, s36, exec_lo
.LBB5_49:                               ;   in Loop: Header=BB5_51 Depth=3
	s_or_b32 exec_lo, exec_lo, s33
	s_delay_alu instid0(SALU_CYCLE_1)
	s_and_not1_b32 s27, s27, exec_lo
	s_and_b32 s33, s35, exec_lo
	s_and_not1_b32 s26, s26, exec_lo
	s_and_b32 s34, s34, exec_lo
	s_or_b32 s27, s27, s33
	s_or_b32 s26, s26, s34
.LBB5_50:                               ;   in Loop: Header=BB5_51 Depth=3
	s_or_b32 exec_lo, exec_lo, s31
	s_delay_alu instid0(SALU_CYCLE_1) | instskip(NEXT) | instid1(SALU_CYCLE_1)
	s_and_b32 s31, exec_lo, s26
	s_or_b32 s24, s31, s24
	s_and_not1_b32 s25, s25, exec_lo
	s_and_b32 s31, s27, exec_lo
	s_delay_alu instid0(SALU_CYCLE_1)
	s_or_b32 s25, s25, s31
	s_and_not1_b32 exec_lo, exec_lo, s24
	s_cbranch_execz .LBB5_60
.LBB5_51:                               ;   Parent Loop BB5_36 Depth=1
                                        ;     Parent Loop BB5_42 Depth=2
                                        ; =>    This Inner Loop Header: Depth=3
	s_delay_alu instid0(VALU_DEP_1) | instskip(SKIP_3) | instid1(VALU_DEP_1)
	v_and_b32_e32 v16, 0x1ff, v17
	s_or_b32 s27, s27, exec_lo
	s_or_b32 s26, s26, exec_lo
	s_mov_b32 s31, exec_lo
	v_lshl_add_u32 v18, v16, 2, v13
	ds_load_b32 v18, v18
	s_wait_dscnt 0x0
	s_wait_xcnt 0x0
	v_cmpx_ne_u32_e32 -1, v18
	s_cbranch_execz .LBB5_50
; %bb.52:                               ;   in Loop: Header=BB5_51 Depth=3
	s_mov_b32 s34, -1
	s_mov_b32 s35, 0
	s_mov_b32 s33, exec_lo
	v_cmpx_ne_u32_e64 v18, v10
	s_cbranch_execz .LBB5_49
; %bb.53:                               ;   in Loop: Header=BB5_51 Depth=3
	v_add_nc_u32_e32 v16, 1, v17
	s_mov_b32 s36, -1
	s_mov_b32 s35, -1
	s_mov_b32 s34, exec_lo
	s_delay_alu instid0(VALU_DEP_1) | instskip(NEXT) | instid1(VALU_DEP_1)
	v_and_b32_e32 v16, 0x1ff, v16
	v_lshl_add_u32 v18, v16, 2, v13
	ds_load_b32 v18, v18
	s_wait_dscnt 0x0
	v_cmpx_ne_u32_e32 -1, v18
	s_cbranch_execz .LBB5_48
; %bb.54:                               ;   in Loop: Header=BB5_51 Depth=3
	s_mov_b32 s37, 0
	s_mov_b32 s35, exec_lo
	v_cmpx_ne_u32_e64 v18, v10
	s_cbranch_execz .LBB5_47
; %bb.55:                               ;   in Loop: Header=BB5_51 Depth=3
	v_add_nc_u32_e32 v16, 2, v17
	s_mov_b32 s38, -1
	s_mov_b32 s37, -1
	s_mov_b32 s36, exec_lo
	s_delay_alu instid0(VALU_DEP_1) | instskip(NEXT) | instid1(VALU_DEP_1)
	v_and_b32_e32 v16, 0x1ff, v16
	v_lshl_add_u32 v18, v16, 2, v13
	ds_load_b32 v18, v18
	s_wait_dscnt 0x0
	v_cmpx_ne_u32_e32 -1, v18
	s_cbranch_execz .LBB5_46
; %bb.56:                               ;   in Loop: Header=BB5_51 Depth=3
	s_mov_b32 s39, 0
	s_mov_b32 s37, exec_lo
	v_cmpx_ne_u32_e64 v18, v10
	s_cbranch_execz .LBB5_45
; %bb.57:                               ;   in Loop: Header=BB5_51 Depth=3
	v_add_nc_u32_e32 v16, 3, v17
	s_mov_b32 s40, -1
	s_mov_b32 s39, -1
	s_mov_b32 s38, exec_lo
	s_delay_alu instid0(VALU_DEP_1) | instskip(NEXT) | instid1(VALU_DEP_1)
	v_and_b32_e32 v16, 0x1ff, v16
	v_lshl_add_u32 v17, v16, 2, v13
	ds_load_b32 v18, v17
                                        ; implicit-def: $vgpr17
	s_wait_dscnt 0x0
	v_cmpx_ne_u32_e32 -1, v18
	s_cbranch_execz .LBB5_44
; %bb.58:                               ;   in Loop: Header=BB5_51 Depth=3
	s_mov_b32 s39, 0
	s_mov_b32 s41, exec_lo
                                        ; implicit-def: $vgpr17
	v_cmpx_ne_u32_e64 v18, v10
	s_cbranch_execz .LBB5_43
; %bb.59:                               ;   in Loop: Header=BB5_51 Depth=3
	v_dual_add_nc_u32 v11, -4, v11 :: v_dual_add_nc_u32 v17, 1, v16
	s_mov_b32 s39, exec_lo
	s_delay_alu instid0(VALU_DEP_1)
	v_cmp_eq_u32_e32 vcc_lo, 0, v11
	s_or_not1_b32 s40, vcc_lo, exec_lo
	s_branch .LBB5_43
.LBB5_60:                               ;   in Loop: Header=BB5_42 Depth=2
	s_or_b32 exec_lo, exec_lo, s24
	s_xor_b32 s24, s25, -1
	s_delay_alu instid0(SALU_CYCLE_1) | instskip(NEXT) | instid1(SALU_CYCLE_1)
	s_and_saveexec_b32 s25, s24
	s_xor_b32 s24, exec_lo, s25
	s_cbranch_execz .LBB5_41
; %bb.61:                               ;   in Loop: Header=BB5_42 Depth=2
	v_lshl_add_u32 v10, v16, 2, v7
	ds_load_b32 v16, v10
	v_lshl_add_u64 v[10:11], v[8:9], 2, s[8:9]
	global_load_b32 v9, v[10:11], off
	s_wait_dscnt 0x0
	global_load_b32 v17, v16, s[8:9] scale_offset
	s_wait_loadcnt 0x0
	v_fma_f32 v9, -v15, v9, v17
	global_store_b32 v16, v9, s[8:9] scale_offset
	s_branch .LBB5_41
.LBB5_62:
	s_or_b32 exec_lo, exec_lo, s2
	s_mov_b32 s5, -1
	s_mov_b32 s4, exec_lo
	s_wait_storecnt 0x0
	v_cmpx_lt_i32_e32 -1, v6
	s_cbranch_execz .LBB5_78
; %bb.63:
	global_load_b32 v8, v6, s[8:9] scale_offset
	v_cmp_eq_u32_e64 s2, 0, v12
	s_wait_loadcnt 0x0
	v_cmp_gt_f32_e32 vcc_lo, 0, v8
	v_cndmask_b32_e64 v0, v8, -v8, vcc_lo
	s_and_not1_b32 vcc_lo, exec_lo, s29
	s_delay_alu instid0(VALU_DEP_1)
	v_cvt_f64_f32_e32 v[0:1], v0
	s_cbranch_vccnz .LBB5_67
; %bb.64:
	v_cvt_f64_f32_e32 v[10:11], s30
	s_cmp_eq_u64 s[20:21], 8
	s_cselect_b32 vcc_lo, -1, 0
	s_delay_alu instid0(VALU_DEP_1) | instskip(NEXT) | instid1(VALU_DEP_1)
	v_dual_cndmask_b32 v5, v11, v5 :: v_dual_cndmask_b32 v4, v10, v4
	v_cmp_ge_f64_e32 vcc_lo, v[4:5], v[0:1]
	s_and_b32 s6, s2, vcc_lo
	s_delay_alu instid0(SALU_CYCLE_1)
	s_and_saveexec_b32 s5, s6
	s_cbranch_execz .LBB5_66
; %bb.65:
	v_dual_mov_b32 v7, 0 :: v_dual_mov_b32 v9, s3
	s_delay_alu instid0(VALU_DEP_1)
	v_lshl_add_u64 v[4:5], v[6:7], 2, s[8:9]
	global_store_b32 v[4:5], v9, off
	global_wb scope:SCOPE_DEV
	s_wait_storecnt 0x0
	global_inv scope:SCOPE_DEV
.LBB5_66:
	s_wait_xcnt 0x0
	s_or_b32 exec_lo, exec_lo, s5
	s_mov_b32 s5, 0
.LBB5_67:
	s_delay_alu instid0(SALU_CYCLE_1)
	s_and_not1_b32 vcc_lo, exec_lo, s5
	s_cbranch_vccnz .LBB5_78
; %bb.68:
	s_load_b64 s[0:1], s[0:1], 0x48
	s_wait_kmcnt 0x0
	s_delay_alu instid0(VALU_DEP_1) | instskip(SKIP_2) | instid1(SALU_CYCLE_1)
	v_cmp_ge_f64_e32 vcc_lo, s[0:1], v[0:1]
	v_add_nc_u32_e32 v0, s28, v2
	s_and_b32 s1, s2, vcc_lo
	s_and_saveexec_b32 s0, s1
	s_cbranch_execz .LBB5_73
; %bb.69:
	s_mov_b32 s3, exec_lo
	s_brev_b32 s1, -2
.LBB5_70:                               ; =>This Inner Loop Header: Depth=1
	s_ctz_i32_b32 s5, s3
	s_delay_alu instid0(SALU_CYCLE_1) | instskip(SKIP_1) | instid1(SALU_CYCLE_1)
	v_readlane_b32 s6, v0, s5
	s_lshl_b32 s5, 1, s5
	s_and_not1_b32 s3, s3, s5
	s_min_i32 s1, s1, s6
	s_cmp_lg_u32 s3, 0
	s_cbranch_scc1 .LBB5_70
; %bb.71:
	v_mbcnt_lo_u32_b32 v1, exec_lo, 0
	s_mov_b32 s3, exec_lo
	s_delay_alu instid0(VALU_DEP_1)
	v_cmpx_eq_u32_e32 0, v1
	s_xor_b32 s3, exec_lo, s3
	s_cbranch_execz .LBB5_73
; %bb.72:
	v_dual_mov_b32 v1, 0 :: v_dual_mov_b32 v4, s1
	global_atomic_min_i32 v1, v4, s[18:19] scope:SCOPE_DEV
.LBB5_73:
	s_wait_xcnt 0x0
	s_or_b32 exec_lo, exec_lo, s0
	v_cmp_eq_f32_e32 vcc_lo, 0, v8
	s_and_b32 s0, s2, vcc_lo
	s_delay_alu instid0(SALU_CYCLE_1)
	s_and_b32 exec_lo, exec_lo, s0
	s_cbranch_execz .LBB5_78
; %bb.74:
	s_mov_b32 s1, exec_lo
	s_brev_b32 s0, -2
.LBB5_75:                               ; =>This Inner Loop Header: Depth=1
	s_ctz_i32_b32 s2, s1
	s_delay_alu instid0(SALU_CYCLE_1) | instskip(SKIP_1) | instid1(SALU_CYCLE_1)
	v_readlane_b32 s3, v0, s2
	s_lshl_b32 s2, 1, s2
	s_and_not1_b32 s1, s1, s2
	s_min_i32 s0, s0, s3
	s_cmp_lg_u32 s1, 0
	s_cbranch_scc1 .LBB5_75
; %bb.76:
	v_mbcnt_lo_u32_b32 v0, exec_lo, 0
	s_mov_b32 s1, exec_lo
	s_delay_alu instid0(VALU_DEP_1)
	v_cmpx_eq_u32_e32 0, v0
	s_xor_b32 s1, exec_lo, s1
	s_cbranch_execz .LBB5_78
; %bb.77:
	v_dual_mov_b32 v0, 0 :: v_dual_mov_b32 v1, s0
	global_atomic_min_i32 v0, v1, s[16:17] scope:SCOPE_DEV
.LBB5_78:
	s_wait_xcnt 0x0
	s_or_b32 exec_lo, exec_lo, s4
	v_cmp_eq_u32_e32 vcc_lo, 0, v12
	global_wb scope:SCOPE_DEV
	s_wait_loadcnt 0x0
	s_wait_storecnt 0x0
	global_inv scope:SCOPE_DEV
	s_and_b32 exec_lo, exec_lo, vcc_lo
	s_cbranch_execz .LBB5_80
; %bb.79:
	v_lshl_add_u64 v[0:1], v[2:3], 2, s[12:13]
	v_mov_b32_e32 v2, 1
	global_wb scope:SCOPE_DEV
	s_wait_loadcnt 0x0
	s_wait_storecnt 0x0
	global_store_b32 v[0:1], v2, off scope:SCOPE_DEV
.LBB5_80:
	s_endpgm
	.section	.rodata,"a",@progbits
	.p2align	6, 0x0
	.amdhsa_kernel _ZN9rocsparseL12csrilu0_hashILj256ELj32ELj16EfEEviPKiS2_PT2_S2_PiS2_S5_S5_d21rocsparse_index_base_imNS_24const_host_device_scalarIfEENS7_IdEENS7_IS3_EEb
		.amdhsa_group_segment_fixed_size 32768
		.amdhsa_private_segment_fixed_size 0
		.amdhsa_kernarg_size 124
		.amdhsa_user_sgpr_count 2
		.amdhsa_user_sgpr_dispatch_ptr 0
		.amdhsa_user_sgpr_queue_ptr 0
		.amdhsa_user_sgpr_kernarg_segment_ptr 1
		.amdhsa_user_sgpr_dispatch_id 0
		.amdhsa_user_sgpr_kernarg_preload_length 0
		.amdhsa_user_sgpr_kernarg_preload_offset 0
		.amdhsa_user_sgpr_private_segment_size 0
		.amdhsa_wavefront_size32 1
		.amdhsa_uses_dynamic_stack 0
		.amdhsa_enable_private_segment 0
		.amdhsa_system_sgpr_workgroup_id_x 1
		.amdhsa_system_sgpr_workgroup_id_y 0
		.amdhsa_system_sgpr_workgroup_id_z 0
		.amdhsa_system_sgpr_workgroup_info 0
		.amdhsa_system_vgpr_workitem_id 0
		.amdhsa_next_free_vgpr 21
		.amdhsa_next_free_sgpr 42
		.amdhsa_named_barrier_count 0
		.amdhsa_reserve_vcc 1
		.amdhsa_float_round_mode_32 0
		.amdhsa_float_round_mode_16_64 0
		.amdhsa_float_denorm_mode_32 3
		.amdhsa_float_denorm_mode_16_64 3
		.amdhsa_fp16_overflow 0
		.amdhsa_memory_ordered 1
		.amdhsa_forward_progress 1
		.amdhsa_inst_pref_size 23
		.amdhsa_round_robin_scheduling 0
		.amdhsa_exception_fp_ieee_invalid_op 0
		.amdhsa_exception_fp_denorm_src 0
		.amdhsa_exception_fp_ieee_div_zero 0
		.amdhsa_exception_fp_ieee_overflow 0
		.amdhsa_exception_fp_ieee_underflow 0
		.amdhsa_exception_fp_ieee_inexact 0
		.amdhsa_exception_int_div_zero 0
	.end_amdhsa_kernel
	.section	.text._ZN9rocsparseL12csrilu0_hashILj256ELj32ELj16EfEEviPKiS2_PT2_S2_PiS2_S5_S5_d21rocsparse_index_base_imNS_24const_host_device_scalarIfEENS7_IdEENS7_IS3_EEb,"axG",@progbits,_ZN9rocsparseL12csrilu0_hashILj256ELj32ELj16EfEEviPKiS2_PT2_S2_PiS2_S5_S5_d21rocsparse_index_base_imNS_24const_host_device_scalarIfEENS7_IdEENS7_IS3_EEb,comdat
.Lfunc_end5:
	.size	_ZN9rocsparseL12csrilu0_hashILj256ELj32ELj16EfEEviPKiS2_PT2_S2_PiS2_S5_S5_d21rocsparse_index_base_imNS_24const_host_device_scalarIfEENS7_IdEENS7_IS3_EEb, .Lfunc_end5-_ZN9rocsparseL12csrilu0_hashILj256ELj32ELj16EfEEviPKiS2_PT2_S2_PiS2_S5_S5_d21rocsparse_index_base_imNS_24const_host_device_scalarIfEENS7_IdEENS7_IS3_EEb
                                        ; -- End function
	.set _ZN9rocsparseL12csrilu0_hashILj256ELj32ELj16EfEEviPKiS2_PT2_S2_PiS2_S5_S5_d21rocsparse_index_base_imNS_24const_host_device_scalarIfEENS7_IdEENS7_IS3_EEb.num_vgpr, 21
	.set _ZN9rocsparseL12csrilu0_hashILj256ELj32ELj16EfEEviPKiS2_PT2_S2_PiS2_S5_S5_d21rocsparse_index_base_imNS_24const_host_device_scalarIfEENS7_IdEENS7_IS3_EEb.num_agpr, 0
	.set _ZN9rocsparseL12csrilu0_hashILj256ELj32ELj16EfEEviPKiS2_PT2_S2_PiS2_S5_S5_d21rocsparse_index_base_imNS_24const_host_device_scalarIfEENS7_IdEENS7_IS3_EEb.numbered_sgpr, 42
	.set _ZN9rocsparseL12csrilu0_hashILj256ELj32ELj16EfEEviPKiS2_PT2_S2_PiS2_S5_S5_d21rocsparse_index_base_imNS_24const_host_device_scalarIfEENS7_IdEENS7_IS3_EEb.num_named_barrier, 0
	.set _ZN9rocsparseL12csrilu0_hashILj256ELj32ELj16EfEEviPKiS2_PT2_S2_PiS2_S5_S5_d21rocsparse_index_base_imNS_24const_host_device_scalarIfEENS7_IdEENS7_IS3_EEb.private_seg_size, 0
	.set _ZN9rocsparseL12csrilu0_hashILj256ELj32ELj16EfEEviPKiS2_PT2_S2_PiS2_S5_S5_d21rocsparse_index_base_imNS_24const_host_device_scalarIfEENS7_IdEENS7_IS3_EEb.uses_vcc, 1
	.set _ZN9rocsparseL12csrilu0_hashILj256ELj32ELj16EfEEviPKiS2_PT2_S2_PiS2_S5_S5_d21rocsparse_index_base_imNS_24const_host_device_scalarIfEENS7_IdEENS7_IS3_EEb.uses_flat_scratch, 0
	.set _ZN9rocsparseL12csrilu0_hashILj256ELj32ELj16EfEEviPKiS2_PT2_S2_PiS2_S5_S5_d21rocsparse_index_base_imNS_24const_host_device_scalarIfEENS7_IdEENS7_IS3_EEb.has_dyn_sized_stack, 0
	.set _ZN9rocsparseL12csrilu0_hashILj256ELj32ELj16EfEEviPKiS2_PT2_S2_PiS2_S5_S5_d21rocsparse_index_base_imNS_24const_host_device_scalarIfEENS7_IdEENS7_IS3_EEb.has_recursion, 0
	.set _ZN9rocsparseL12csrilu0_hashILj256ELj32ELj16EfEEviPKiS2_PT2_S2_PiS2_S5_S5_d21rocsparse_index_base_imNS_24const_host_device_scalarIfEENS7_IdEENS7_IS3_EEb.has_indirect_call, 0
	.section	.AMDGPU.csdata,"",@progbits
; Kernel info:
; codeLenInByte = 2864
; TotalNumSgprs: 44
; NumVgprs: 21
; ScratchSize: 0
; MemoryBound: 0
; FloatMode: 240
; IeeeMode: 1
; LDSByteSize: 32768 bytes/workgroup (compile time only)
; SGPRBlocks: 0
; VGPRBlocks: 1
; NumSGPRsForWavesPerEU: 44
; NumVGPRsForWavesPerEU: 21
; NamedBarCnt: 0
; Occupancy: 16
; WaveLimiterHint : 1
; COMPUTE_PGM_RSRC2:SCRATCH_EN: 0
; COMPUTE_PGM_RSRC2:USER_SGPR: 2
; COMPUTE_PGM_RSRC2:TRAP_HANDLER: 0
; COMPUTE_PGM_RSRC2:TGID_X_EN: 1
; COMPUTE_PGM_RSRC2:TGID_Y_EN: 0
; COMPUTE_PGM_RSRC2:TGID_Z_EN: 0
; COMPUTE_PGM_RSRC2:TIDIG_COMP_CNT: 0
	.section	.text._ZN9rocsparseL17csrilu0_binsearchILj256ELj32ELb0EfEEviPKiS2_PT2_S2_PiS2_S5_S5_d21rocsparse_index_base_imNS_24const_host_device_scalarIfEENS7_IdEENS7_IS3_EEb,"axG",@progbits,_ZN9rocsparseL17csrilu0_binsearchILj256ELj32ELb0EfEEviPKiS2_PT2_S2_PiS2_S5_S5_d21rocsparse_index_base_imNS_24const_host_device_scalarIfEENS7_IdEENS7_IS3_EEb,comdat
	.globl	_ZN9rocsparseL17csrilu0_binsearchILj256ELj32ELb0EfEEviPKiS2_PT2_S2_PiS2_S5_S5_d21rocsparse_index_base_imNS_24const_host_device_scalarIfEENS7_IdEENS7_IS3_EEb ; -- Begin function _ZN9rocsparseL17csrilu0_binsearchILj256ELj32ELb0EfEEviPKiS2_PT2_S2_PiS2_S5_S5_d21rocsparse_index_base_imNS_24const_host_device_scalarIfEENS7_IdEENS7_IS3_EEb
	.p2align	8
	.type	_ZN9rocsparseL17csrilu0_binsearchILj256ELj32ELb0EfEEviPKiS2_PT2_S2_PiS2_S5_S5_d21rocsparse_index_base_imNS_24const_host_device_scalarIfEENS7_IdEENS7_IS3_EEb,@function
_ZN9rocsparseL17csrilu0_binsearchILj256ELj32ELb0EfEEviPKiS2_PT2_S2_PiS2_S5_S5_d21rocsparse_index_base_imNS_24const_host_device_scalarIfEENS7_IdEENS7_IS3_EEb: ; @_ZN9rocsparseL17csrilu0_binsearchILj256ELj32ELb0EfEEviPKiS2_PT2_S2_PiS2_S5_S5_d21rocsparse_index_base_imNS_24const_host_device_scalarIfEENS7_IdEENS7_IS3_EEb
; %bb.0:
	s_clause 0x2
	s_load_b32 s2, s[0:1], 0x78
	s_load_b64 s[28:29], s[0:1], 0x50
	s_load_b256 s[20:27], s[0:1], 0x58
	s_wait_kmcnt 0x0
	s_bitcmp1_b32 s2, 0
	s_cselect_b32 s2, -1, 0
	s_cmp_eq_u32 s29, 0
	s_cselect_b32 s4, -1, 0
	s_cmp_lg_u32 s29, 0
	s_cselect_b32 s29, -1, 0
	s_or_b32 s6, s4, s2
	s_delay_alu instid0(SALU_CYCLE_1)
	s_xor_b32 s5, s6, -1
	s_and_b32 s2, s4, exec_lo
	s_cselect_b32 s3, 0, s25
	s_cselect_b32 s2, 0, s24
	;; [unrolled: 1-line block ×3, first 2 shown]
	s_and_b32 vcc_lo, exec_lo, s6
	s_cbranch_vccnz .LBB6_2
; %bb.1:
	s_load_b32 s30, s[22:23], 0x0
	s_mov_b64 s[2:3], s[24:25]
.LBB6_2:
	s_delay_alu instid0(SALU_CYCLE_1)
	v_mov_b64_e32 v[4:5], s[2:3]
	v_cndmask_b32_e64 v1, 0, 1, s5
	s_and_not1_b32 vcc_lo, exec_lo, s5
	s_cbranch_vccnz .LBB6_4
; %bb.3:
	v_mov_b32_e32 v2, 0
	flat_load_b64 v[4:5], v2, s[24:25]
.LBB6_4:
	s_delay_alu instid0(VALU_DEP_1)
	v_cmp_ne_u32_e32 vcc_lo, 1, v1
	s_and_b32 s2, s4, exec_lo
	s_cselect_b32 s3, 0, s26
	s_cbranch_vccnz .LBB6_6
; %bb.5:
	s_load_b32 s3, s[26:27], 0x0
.LBB6_6:
	s_load_b32 s2, s[0:1], 0x0
	s_bfe_u32 s4, ttmp6, 0x4000c
	s_and_b32 s5, ttmp6, 15
	s_add_co_i32 s4, s4, 1
	s_getreg_b32 s6, hwreg(HW_REG_IB_STS2, 6, 4)
	s_mul_i32 s4, ttmp9, s4
	v_lshrrev_b32_e32 v1, 5, v0
	s_add_co_i32 s5, s5, s4
	s_cmp_eq_u32 s6, 0
	s_cselect_b32 s4, ttmp9, s5
	s_delay_alu instid0(SALU_CYCLE_1) | instskip(NEXT) | instid1(SALU_CYCLE_1)
	s_lshl_b32 s4, s4, 3
	v_and_or_b32 v1, 0x7fffff8, s4, v1
	s_wait_kmcnt 0x0
	s_delay_alu instid0(VALU_DEP_1)
	v_cmp_gt_i32_e32 vcc_lo, s2, v1
	s_and_saveexec_b32 s2, vcc_lo
	s_cbranch_execz .LBB6_42
; %bb.7:
	s_load_b512 s[4:19], s[0:1], 0x8
	s_mov_b32 s2, exec_lo
	s_wait_kmcnt 0x0
	global_load_b32 v2, v1, s[14:15] scale_offset
	v_and_b32_e32 v12, 31, v0
	s_wait_loadcnt 0x0
	s_clause 0x1
	global_load_b32 v1, v2, s[4:5] scale_offset
	global_load_b32 v6, v2, s[10:11] scale_offset
	v_ashrrev_i32_e32 v3, 31, v2
	s_wait_loadcnt 0x1
	v_subrev_nc_u32_e32 v8, s28, v1
	s_wait_loadcnt 0x0
	s_delay_alu instid0(VALU_DEP_1)
	v_cmpx_lt_i32_e64 v8, v6
	s_cbranch_execz .LBB6_24
; %bb.8:
	v_lshl_add_u64 v[0:1], v[2:3], 2, s[4:5]
	v_add_nc_u32_e32 v7, 1, v12
	s_mov_b32 s14, 0
	global_load_b32 v0, v[0:1], off offset:4
	s_wait_loadcnt 0x0
	v_xad_u32 v13, s28, -1, v0
	s_branch .LBB6_11
.LBB6_9:                                ;   in Loop: Header=BB6_11 Depth=1
	s_or_b32 exec_lo, exec_lo, s22
	v_cmp_ge_i32_e32 vcc_lo, v8, v6
	s_or_not1_b32 s22, vcc_lo, exec_lo
.LBB6_10:                               ;   in Loop: Header=BB6_11 Depth=1
	s_or_b32 exec_lo, exec_lo, s15
	s_delay_alu instid0(SALU_CYCLE_1) | instskip(NEXT) | instid1(SALU_CYCLE_1)
	s_and_b32 s15, exec_lo, s22
	s_or_b32 s14, s15, s14
	s_delay_alu instid0(SALU_CYCLE_1)
	s_and_not1_b32 exec_lo, exec_lo, s14
	s_cbranch_execz .LBB6_24
.LBB6_11:                               ; =>This Loop Header: Depth=1
                                        ;     Child Loop BB6_13 Depth 2
                                        ;     Child Loop BB6_18 Depth 2
                                        ;       Child Loop BB6_20 Depth 3
	s_clause 0x1
	global_load_b32 v0, v8, s[6:7] scale_offset
	global_load_b32 v14, v8, s[8:9] scale_offset
	s_mov_b32 s15, exec_lo
	s_wait_loadcnt 0x1
	v_subrev_nc_u32_e32 v0, s28, v0
	s_clause 0x2
	global_load_b32 v16, v0, s[4:5] offset:4 scale_offset
	global_load_b32 v15, v0, s[10:11] scale_offset
	global_load_b32 v1, v0, s[12:13] scale_offset scope:SCOPE_DEV
	s_wait_loadcnt 0x0
	s_wait_xcnt 0x0
	v_cmpx_eq_u32_e32 0, v1
	s_cbranch_execz .LBB6_14
; %bb.12:                               ;   in Loop: Header=BB6_11 Depth=1
	v_ashrrev_i32_e32 v1, 31, v0
	s_mov_b32 s22, 0
	s_delay_alu instid0(VALU_DEP_1)
	v_lshl_add_u64 v[0:1], v[0:1], 2, s[12:13]
.LBB6_13:                               ;   Parent Loop BB6_11 Depth=1
                                        ; =>  This Inner Loop Header: Depth=2
	global_load_b32 v9, v[0:1], off scope:SCOPE_DEV
	s_wait_loadcnt 0x0
	v_cmp_ne_u32_e32 vcc_lo, 0, v9
	s_or_b32 s22, vcc_lo, s22
	s_wait_xcnt 0x0
	s_and_not1_b32 exec_lo, exec_lo, s22
	s_cbranch_execnz .LBB6_13
.LBB6_14:                               ;   in Loop: Header=BB6_11 Depth=1
	s_or_b32 exec_lo, exec_lo, s15
	v_ashrrev_i32_e32 v9, 31, v8
	v_cmp_eq_u32_e32 vcc_lo, -1, v15
	s_wait_dscnt 0x0
	global_inv scope:SCOPE_DEV
	s_mov_b32 s22, -1
	s_mov_b32 s15, exec_lo
	v_lshl_add_u64 v[10:11], v[8:9], 2, s[8:9]
	v_subrev_nc_u32_e32 v9, s28, v16
	s_delay_alu instid0(VALU_DEP_1) | instskip(NEXT) | instid1(VALU_DEP_1)
	v_add_nc_u32_e32 v0, -1, v9
	v_cndmask_b32_e32 v0, v15, v0, vcc_lo
	global_load_b32 v1, v0, s[8:9] scale_offset
	s_wait_loadcnt 0x0
	s_wait_xcnt 0x0
	v_cmpx_neq_f32_e32 0, v1
	s_xor_b32 s15, exec_lo, s15
	s_cbranch_execz .LBB6_10
; %bb.15:                               ;   in Loop: Header=BB6_11 Depth=1
	v_div_scale_f32 v15, null, v1, v1, v14
	v_div_scale_f32 v18, vcc_lo, v14, v1, v14
	v_add_nc_u32_e32 v0, v7, v0
	s_delay_alu instid0(VALU_DEP_3) | instskip(SKIP_2) | instid1(TRANS32_DEP_1)
	v_rcp_f32_e32 v16, v15
	s_mov_b32 s22, exec_lo
	v_add_nc_u32_e32 v8, 1, v8
	v_fma_f32 v17, -v15, v16, 1.0
	s_delay_alu instid0(VALU_DEP_1) | instskip(NEXT) | instid1(VALU_DEP_1)
	v_fmac_f32_e32 v16, v17, v16
	v_mul_f32_e32 v17, v18, v16
	s_delay_alu instid0(VALU_DEP_1) | instskip(NEXT) | instid1(VALU_DEP_1)
	v_fma_f32 v19, -v15, v17, v18
	v_fmac_f32_e32 v17, v19, v16
	s_delay_alu instid0(VALU_DEP_1) | instskip(NEXT) | instid1(VALU_DEP_1)
	v_fma_f32 v15, -v15, v17, v18
	v_div_fmas_f32 v15, v15, v16, v17
	s_delay_alu instid0(VALU_DEP_1)
	v_div_fixup_f32 v14, v15, v1, v14
	global_store_b32 v[10:11], v14, off
	s_wait_xcnt 0x0
	v_cmpx_lt_i32_e64 v0, v9
	s_cbranch_execz .LBB6_9
; %bb.16:                               ;   in Loop: Header=BB6_11 Depth=1
	v_mov_b32_e32 v10, v8
	s_mov_b32 s23, 0
	s_branch .LBB6_18
.LBB6_17:                               ;   in Loop: Header=BB6_18 Depth=2
	s_wait_xcnt 0x0
	s_or_b32 exec_lo, exec_lo, s24
	v_add_nc_u32_e32 v0, 32, v0
	s_delay_alu instid0(VALU_DEP_1) | instskip(SKIP_1) | instid1(SALU_CYCLE_1)
	v_cmp_ge_i32_e32 vcc_lo, v0, v9
	s_or_b32 s23, vcc_lo, s23
	s_and_not1_b32 exec_lo, exec_lo, s23
	s_cbranch_execz .LBB6_9
.LBB6_18:                               ;   Parent Loop BB6_11 Depth=1
                                        ; =>  This Loop Header: Depth=2
                                        ;       Child Loop BB6_20 Depth 3
	s_delay_alu instid0(VALU_DEP_1) | instskip(SKIP_1) | instid1(VALU_DEP_1)
	v_add_nc_u32_e32 v1, v10, v13
	s_mov_b32 s24, exec_lo
	v_ashrrev_i32_e32 v1, 1, v1
	s_clause 0x1
	global_load_b32 v11, v0, s[6:7] scale_offset
	global_load_b32 v15, v1, s[6:7] scale_offset
	s_wait_xcnt 0x0
	v_cmpx_lt_i32_e64 v10, v13
	s_cbranch_execz .LBB6_22
; %bb.19:                               ;   in Loop: Header=BB6_18 Depth=2
	v_mov_b32_e32 v16, v13
	s_mov_b32 s25, 0
.LBB6_20:                               ;   Parent Loop BB6_11 Depth=1
                                        ;     Parent Loop BB6_18 Depth=2
                                        ; =>    This Inner Loop Header: Depth=3
	s_wait_loadcnt 0x0
	v_cmp_lt_i32_e32 vcc_lo, v15, v11
	s_delay_alu instid0(VALU_DEP_2) | instskip(NEXT) | instid1(VALU_DEP_1)
	v_dual_cndmask_b32 v16, v1, v16 :: v_dual_add_nc_u32 v17, 1, v1
	v_cndmask_b32_e32 v10, v10, v17, vcc_lo
	s_delay_alu instid0(VALU_DEP_1) | instskip(SKIP_1) | instid1(VALU_DEP_2)
	v_add_nc_u32_e32 v1, v16, v10
	v_cmp_ge_i32_e32 vcc_lo, v10, v16
	v_ashrrev_i32_e32 v1, 1, v1
	s_or_b32 s25, vcc_lo, s25
	global_load_b32 v15, v1, s[6:7] scale_offset
	s_wait_xcnt 0x0
	s_and_not1_b32 exec_lo, exec_lo, s25
	s_cbranch_execnz .LBB6_20
; %bb.21:                               ;   in Loop: Header=BB6_18 Depth=2
	s_or_b32 exec_lo, exec_lo, s25
.LBB6_22:                               ;   in Loop: Header=BB6_18 Depth=2
	s_delay_alu instid0(SALU_CYCLE_1)
	s_or_b32 exec_lo, exec_lo, s24
	v_ashrrev_i32_e32 v1, 31, v0
	s_mov_b32 s24, exec_lo
	s_wait_loadcnt 0x0
	v_cmpx_eq_u32_e64 v15, v11
	s_cbranch_execz .LBB6_17
; %bb.23:                               ;   in Loop: Header=BB6_18 Depth=2
	v_lshl_add_u64 v[16:17], v[0:1], 2, s[8:9]
	s_clause 0x1
	global_load_b32 v1, v[16:17], off
	global_load_b32 v11, v10, s[8:9] scale_offset
	s_wait_loadcnt 0x0
	v_fma_f32 v1, -v14, v1, v11
	global_store_b32 v10, v1, s[8:9] scale_offset
	s_branch .LBB6_17
.LBB6_24:
	s_or_b32 exec_lo, exec_lo, s2
	s_mov_b32 s5, -1
	s_mov_b32 s4, exec_lo
	s_wait_storecnt_dscnt 0x0
	v_cmpx_lt_i32_e32 -1, v6
	s_cbranch_execz .LBB6_40
; %bb.25:
	global_load_b32 v8, v6, s[8:9] scale_offset
	v_cmp_eq_u32_e64 s2, 0, v12
	s_wait_loadcnt 0x0
	v_cmp_gt_f32_e32 vcc_lo, 0, v8
	v_cndmask_b32_e64 v0, v8, -v8, vcc_lo
	s_and_not1_b32 vcc_lo, exec_lo, s29
	s_delay_alu instid0(VALU_DEP_1)
	v_cvt_f64_f32_e32 v[0:1], v0
	s_cbranch_vccnz .LBB6_29
; %bb.26:
	v_cvt_f64_f32_e32 v[10:11], s30
	s_cmp_eq_u64 s[20:21], 8
	s_cselect_b32 vcc_lo, -1, 0
	s_delay_alu instid0(VALU_DEP_1) | instskip(NEXT) | instid1(VALU_DEP_1)
	v_dual_cndmask_b32 v5, v11, v5 :: v_dual_cndmask_b32 v4, v10, v4
	v_cmp_ge_f64_e32 vcc_lo, v[4:5], v[0:1]
	s_and_b32 s6, s2, vcc_lo
	s_delay_alu instid0(SALU_CYCLE_1)
	s_and_saveexec_b32 s5, s6
	s_cbranch_execz .LBB6_28
; %bb.27:
	v_mov_b32_e32 v7, 0
	s_delay_alu instid0(VALU_DEP_1)
	v_lshl_add_u64 v[4:5], v[6:7], 2, s[8:9]
	v_mov_b32_e32 v6, s3
	global_store_b32 v[4:5], v6, off
.LBB6_28:
	s_wait_xcnt 0x0
	s_or_b32 exec_lo, exec_lo, s5
	s_mov_b32 s5, 0
.LBB6_29:
	s_delay_alu instid0(SALU_CYCLE_1)
	s_and_not1_b32 vcc_lo, exec_lo, s5
	s_cbranch_vccnz .LBB6_40
; %bb.30:
	s_load_b64 s[0:1], s[0:1], 0x48
	s_wait_kmcnt 0x0
	s_delay_alu instid0(VALU_DEP_1) | instskip(SKIP_2) | instid1(SALU_CYCLE_1)
	v_cmp_ge_f64_e32 vcc_lo, s[0:1], v[0:1]
	v_add_nc_u32_e32 v0, s28, v2
	s_and_b32 s1, s2, vcc_lo
	s_and_saveexec_b32 s0, s1
	s_cbranch_execz .LBB6_35
; %bb.31:
	s_mov_b32 s3, exec_lo
	s_brev_b32 s1, -2
.LBB6_32:                               ; =>This Inner Loop Header: Depth=1
	s_ctz_i32_b32 s5, s3
	s_delay_alu instid0(SALU_CYCLE_1) | instskip(SKIP_1) | instid1(SALU_CYCLE_1)
	v_readlane_b32 s6, v0, s5
	s_lshl_b32 s5, 1, s5
	s_and_not1_b32 s3, s3, s5
	s_min_i32 s1, s1, s6
	s_cmp_lg_u32 s3, 0
	s_cbranch_scc1 .LBB6_32
; %bb.33:
	v_mbcnt_lo_u32_b32 v1, exec_lo, 0
	s_mov_b32 s3, exec_lo
	s_delay_alu instid0(VALU_DEP_1)
	v_cmpx_eq_u32_e32 0, v1
	s_xor_b32 s3, exec_lo, s3
	s_cbranch_execz .LBB6_35
; %bb.34:
	v_dual_mov_b32 v1, 0 :: v_dual_mov_b32 v4, s1
	global_atomic_min_i32 v1, v4, s[18:19] scope:SCOPE_DEV
.LBB6_35:
	s_wait_xcnt 0x0
	s_or_b32 exec_lo, exec_lo, s0
	v_cmp_eq_f32_e32 vcc_lo, 0, v8
	s_and_b32 s0, s2, vcc_lo
	s_delay_alu instid0(SALU_CYCLE_1)
	s_and_b32 exec_lo, exec_lo, s0
	s_cbranch_execz .LBB6_40
; %bb.36:
	s_mov_b32 s1, exec_lo
	s_brev_b32 s0, -2
.LBB6_37:                               ; =>This Inner Loop Header: Depth=1
	s_ctz_i32_b32 s2, s1
	s_delay_alu instid0(SALU_CYCLE_1) | instskip(SKIP_1) | instid1(SALU_CYCLE_1)
	v_readlane_b32 s3, v0, s2
	s_lshl_b32 s2, 1, s2
	s_and_not1_b32 s1, s1, s2
	s_min_i32 s0, s0, s3
	s_cmp_lg_u32 s1, 0
	s_cbranch_scc1 .LBB6_37
; %bb.38:
	v_mbcnt_lo_u32_b32 v0, exec_lo, 0
	s_mov_b32 s1, exec_lo
	s_delay_alu instid0(VALU_DEP_1)
	v_cmpx_eq_u32_e32 0, v0
	s_xor_b32 s1, exec_lo, s1
	s_cbranch_execz .LBB6_40
; %bb.39:
	v_dual_mov_b32 v0, 0 :: v_dual_mov_b32 v1, s0
	global_atomic_min_i32 v0, v1, s[16:17] scope:SCOPE_DEV
.LBB6_40:
	s_wait_xcnt 0x0
	s_or_b32 exec_lo, exec_lo, s4
	v_cmp_eq_u32_e32 vcc_lo, 0, v12
	global_wb scope:SCOPE_DEV
	s_wait_storecnt 0x0
	global_inv scope:SCOPE_DEV
	s_and_b32 exec_lo, exec_lo, vcc_lo
	s_cbranch_execz .LBB6_42
; %bb.41:
	v_lshl_add_u64 v[0:1], v[2:3], 2, s[12:13]
	v_mov_b32_e32 v2, 1
	global_wb scope:SCOPE_DEV
	s_wait_loadcnt 0x0
	s_wait_storecnt 0x0
	global_store_b32 v[0:1], v2, off scope:SCOPE_DEV
.LBB6_42:
	s_endpgm
	.section	.rodata,"a",@progbits
	.p2align	6, 0x0
	.amdhsa_kernel _ZN9rocsparseL17csrilu0_binsearchILj256ELj32ELb0EfEEviPKiS2_PT2_S2_PiS2_S5_S5_d21rocsparse_index_base_imNS_24const_host_device_scalarIfEENS7_IdEENS7_IS3_EEb
		.amdhsa_group_segment_fixed_size 0
		.amdhsa_private_segment_fixed_size 0
		.amdhsa_kernarg_size 124
		.amdhsa_user_sgpr_count 2
		.amdhsa_user_sgpr_dispatch_ptr 0
		.amdhsa_user_sgpr_queue_ptr 0
		.amdhsa_user_sgpr_kernarg_segment_ptr 1
		.amdhsa_user_sgpr_dispatch_id 0
		.amdhsa_user_sgpr_kernarg_preload_length 0
		.amdhsa_user_sgpr_kernarg_preload_offset 0
		.amdhsa_user_sgpr_private_segment_size 0
		.amdhsa_wavefront_size32 1
		.amdhsa_uses_dynamic_stack 0
		.amdhsa_enable_private_segment 0
		.amdhsa_system_sgpr_workgroup_id_x 1
		.amdhsa_system_sgpr_workgroup_id_y 0
		.amdhsa_system_sgpr_workgroup_id_z 0
		.amdhsa_system_sgpr_workgroup_info 0
		.amdhsa_system_vgpr_workitem_id 0
		.amdhsa_next_free_vgpr 20
		.amdhsa_next_free_sgpr 31
		.amdhsa_named_barrier_count 0
		.amdhsa_reserve_vcc 1
		.amdhsa_float_round_mode_32 0
		.amdhsa_float_round_mode_16_64 0
		.amdhsa_float_denorm_mode_32 3
		.amdhsa_float_denorm_mode_16_64 3
		.amdhsa_fp16_overflow 0
		.amdhsa_memory_ordered 1
		.amdhsa_forward_progress 1
		.amdhsa_inst_pref_size 13
		.amdhsa_round_robin_scheduling 0
		.amdhsa_exception_fp_ieee_invalid_op 0
		.amdhsa_exception_fp_denorm_src 0
		.amdhsa_exception_fp_ieee_div_zero 0
		.amdhsa_exception_fp_ieee_overflow 0
		.amdhsa_exception_fp_ieee_underflow 0
		.amdhsa_exception_fp_ieee_inexact 0
		.amdhsa_exception_int_div_zero 0
	.end_amdhsa_kernel
	.section	.text._ZN9rocsparseL17csrilu0_binsearchILj256ELj32ELb0EfEEviPKiS2_PT2_S2_PiS2_S5_S5_d21rocsparse_index_base_imNS_24const_host_device_scalarIfEENS7_IdEENS7_IS3_EEb,"axG",@progbits,_ZN9rocsparseL17csrilu0_binsearchILj256ELj32ELb0EfEEviPKiS2_PT2_S2_PiS2_S5_S5_d21rocsparse_index_base_imNS_24const_host_device_scalarIfEENS7_IdEENS7_IS3_EEb,comdat
.Lfunc_end6:
	.size	_ZN9rocsparseL17csrilu0_binsearchILj256ELj32ELb0EfEEviPKiS2_PT2_S2_PiS2_S5_S5_d21rocsparse_index_base_imNS_24const_host_device_scalarIfEENS7_IdEENS7_IS3_EEb, .Lfunc_end6-_ZN9rocsparseL17csrilu0_binsearchILj256ELj32ELb0EfEEviPKiS2_PT2_S2_PiS2_S5_S5_d21rocsparse_index_base_imNS_24const_host_device_scalarIfEENS7_IdEENS7_IS3_EEb
                                        ; -- End function
	.set _ZN9rocsparseL17csrilu0_binsearchILj256ELj32ELb0EfEEviPKiS2_PT2_S2_PiS2_S5_S5_d21rocsparse_index_base_imNS_24const_host_device_scalarIfEENS7_IdEENS7_IS3_EEb.num_vgpr, 20
	.set _ZN9rocsparseL17csrilu0_binsearchILj256ELj32ELb0EfEEviPKiS2_PT2_S2_PiS2_S5_S5_d21rocsparse_index_base_imNS_24const_host_device_scalarIfEENS7_IdEENS7_IS3_EEb.num_agpr, 0
	.set _ZN9rocsparseL17csrilu0_binsearchILj256ELj32ELb0EfEEviPKiS2_PT2_S2_PiS2_S5_S5_d21rocsparse_index_base_imNS_24const_host_device_scalarIfEENS7_IdEENS7_IS3_EEb.numbered_sgpr, 31
	.set _ZN9rocsparseL17csrilu0_binsearchILj256ELj32ELb0EfEEviPKiS2_PT2_S2_PiS2_S5_S5_d21rocsparse_index_base_imNS_24const_host_device_scalarIfEENS7_IdEENS7_IS3_EEb.num_named_barrier, 0
	.set _ZN9rocsparseL17csrilu0_binsearchILj256ELj32ELb0EfEEviPKiS2_PT2_S2_PiS2_S5_S5_d21rocsparse_index_base_imNS_24const_host_device_scalarIfEENS7_IdEENS7_IS3_EEb.private_seg_size, 0
	.set _ZN9rocsparseL17csrilu0_binsearchILj256ELj32ELb0EfEEviPKiS2_PT2_S2_PiS2_S5_S5_d21rocsparse_index_base_imNS_24const_host_device_scalarIfEENS7_IdEENS7_IS3_EEb.uses_vcc, 1
	.set _ZN9rocsparseL17csrilu0_binsearchILj256ELj32ELb0EfEEviPKiS2_PT2_S2_PiS2_S5_S5_d21rocsparse_index_base_imNS_24const_host_device_scalarIfEENS7_IdEENS7_IS3_EEb.uses_flat_scratch, 0
	.set _ZN9rocsparseL17csrilu0_binsearchILj256ELj32ELb0EfEEviPKiS2_PT2_S2_PiS2_S5_S5_d21rocsparse_index_base_imNS_24const_host_device_scalarIfEENS7_IdEENS7_IS3_EEb.has_dyn_sized_stack, 0
	.set _ZN9rocsparseL17csrilu0_binsearchILj256ELj32ELb0EfEEviPKiS2_PT2_S2_PiS2_S5_S5_d21rocsparse_index_base_imNS_24const_host_device_scalarIfEENS7_IdEENS7_IS3_EEb.has_recursion, 0
	.set _ZN9rocsparseL17csrilu0_binsearchILj256ELj32ELb0EfEEviPKiS2_PT2_S2_PiS2_S5_S5_d21rocsparse_index_base_imNS_24const_host_device_scalarIfEENS7_IdEENS7_IS3_EEb.has_indirect_call, 0
	.section	.AMDGPU.csdata,"",@progbits
; Kernel info:
; codeLenInByte = 1616
; TotalNumSgprs: 33
; NumVgprs: 20
; ScratchSize: 0
; MemoryBound: 0
; FloatMode: 240
; IeeeMode: 1
; LDSByteSize: 0 bytes/workgroup (compile time only)
; SGPRBlocks: 0
; VGPRBlocks: 1
; NumSGPRsForWavesPerEU: 33
; NumVGPRsForWavesPerEU: 20
; NamedBarCnt: 0
; Occupancy: 16
; WaveLimiterHint : 1
; COMPUTE_PGM_RSRC2:SCRATCH_EN: 0
; COMPUTE_PGM_RSRC2:USER_SGPR: 2
; COMPUTE_PGM_RSRC2:TRAP_HANDLER: 0
; COMPUTE_PGM_RSRC2:TGID_X_EN: 1
; COMPUTE_PGM_RSRC2:TGID_Y_EN: 0
; COMPUTE_PGM_RSRC2:TGID_Z_EN: 0
; COMPUTE_PGM_RSRC2:TIDIG_COMP_CNT: 0
	.section	.text._ZN9rocsparseL12csrilu0_hashILj256ELj64ELj1EfEEviPKiS2_PT2_S2_PiS2_S5_S5_d21rocsparse_index_base_imNS_24const_host_device_scalarIfEENS7_IdEENS7_IS3_EEb,"axG",@progbits,_ZN9rocsparseL12csrilu0_hashILj256ELj64ELj1EfEEviPKiS2_PT2_S2_PiS2_S5_S5_d21rocsparse_index_base_imNS_24const_host_device_scalarIfEENS7_IdEENS7_IS3_EEb,comdat
	.globl	_ZN9rocsparseL12csrilu0_hashILj256ELj64ELj1EfEEviPKiS2_PT2_S2_PiS2_S5_S5_d21rocsparse_index_base_imNS_24const_host_device_scalarIfEENS7_IdEENS7_IS3_EEb ; -- Begin function _ZN9rocsparseL12csrilu0_hashILj256ELj64ELj1EfEEviPKiS2_PT2_S2_PiS2_S5_S5_d21rocsparse_index_base_imNS_24const_host_device_scalarIfEENS7_IdEENS7_IS3_EEb
	.p2align	8
	.type	_ZN9rocsparseL12csrilu0_hashILj256ELj64ELj1EfEEviPKiS2_PT2_S2_PiS2_S5_S5_d21rocsparse_index_base_imNS_24const_host_device_scalarIfEENS7_IdEENS7_IS3_EEb,@function
_ZN9rocsparseL12csrilu0_hashILj256ELj64ELj1EfEEviPKiS2_PT2_S2_PiS2_S5_S5_d21rocsparse_index_base_imNS_24const_host_device_scalarIfEENS7_IdEENS7_IS3_EEb: ; @_ZN9rocsparseL12csrilu0_hashILj256ELj64ELj1EfEEviPKiS2_PT2_S2_PiS2_S5_S5_d21rocsparse_index_base_imNS_24const_host_device_scalarIfEENS7_IdEENS7_IS3_EEb
; %bb.0:
	s_clause 0x2
	s_load_b32 s2, s[0:1], 0x78
	s_load_b64 s[28:29], s[0:1], 0x50
	s_load_b256 s[20:27], s[0:1], 0x58
	s_wait_kmcnt 0x0
	s_bitcmp1_b32 s2, 0
	s_cselect_b32 s2, -1, 0
	s_cmp_eq_u32 s29, 0
	s_cselect_b32 s4, -1, 0
	s_cmp_lg_u32 s29, 0
	s_cselect_b32 s29, -1, 0
	s_or_b32 s6, s4, s2
	s_delay_alu instid0(SALU_CYCLE_1)
	s_xor_b32 s5, s6, -1
	s_and_b32 s2, s4, exec_lo
	s_cselect_b32 s3, 0, s25
	s_cselect_b32 s2, 0, s24
	;; [unrolled: 1-line block ×3, first 2 shown]
	s_and_b32 vcc_lo, exec_lo, s6
	s_cbranch_vccnz .LBB7_2
; %bb.1:
	s_load_b32 s30, s[22:23], 0x0
	s_mov_b64 s[2:3], s[24:25]
.LBB7_2:
	s_delay_alu instid0(SALU_CYCLE_1)
	v_mov_b64_e32 v[2:3], s[2:3]
	v_cndmask_b32_e64 v1, 0, 1, s5
	s_and_not1_b32 vcc_lo, exec_lo, s5
	s_cbranch_vccnz .LBB7_4
; %bb.3:
	v_mov_b32_e32 v2, 0
	flat_load_b64 v[2:3], v2, s[24:25]
.LBB7_4:
	s_delay_alu instid0(VALU_DEP_1)
	v_cmp_ne_u32_e32 vcc_lo, 1, v1
	s_and_b32 s2, s4, exec_lo
	s_cselect_b32 s3, 0, s26
	s_cbranch_vccnz .LBB7_6
; %bb.5:
	s_load_b32 s3, s[26:27], 0x0
.LBB7_6:
	s_load_b32 s2, s[0:1], 0x0
	s_bfe_u32 s4, ttmp6, 0x4000c
	s_and_b32 s5, ttmp6, 15
	s_add_co_i32 s4, s4, 1
	s_getreg_b32 s6, hwreg(HW_REG_IB_STS2, 6, 4)
	s_mul_i32 s4, ttmp9, s4
	v_and_b32_e32 v12, 63, v0
	s_add_co_i32 s5, s5, s4
	s_cmp_eq_u32 s6, 0
	v_and_b32_e32 v9, 0xc0, v0
	v_lshrrev_b32_e32 v0, 6, v0
	s_cselect_b32 s4, ttmp9, s5
	v_mov_b32_e32 v4, -1
	s_lshl_b32 s4, s4, 2
	v_lshl_or_b32 v5, v9, 2, 0x400
	v_and_or_b32 v0, 0x3fffffc, s4, v0
	s_delay_alu instid0(VALU_DEP_2) | instskip(SKIP_1) | instid1(VALU_DEP_2)
	v_lshl_or_b32 v1, v12, 2, v5
	s_wait_kmcnt 0x0
	v_cmp_gt_i32_e32 vcc_lo, s2, v0
	ds_store_b32 v1, v4
	s_wait_loadcnt_dscnt 0x0
	s_and_saveexec_b32 s2, vcc_lo
	s_cbranch_execz .LBB7_78
; %bb.7:
	s_load_b512 s[4:19], s[0:1], 0x8
	s_mov_b32 s2, exec_lo
	v_lshlrev_b32_e32 v13, 2, v9
	s_wait_kmcnt 0x0
	global_load_b32 v0, v0, s[14:15] scale_offset
	s_wait_loadcnt 0x0
	v_ashrrev_i32_e32 v1, 31, v0
	s_delay_alu instid0(VALU_DEP_1)
	v_lshl_add_u64 v[6:7], v[0:1], 2, s[4:5]
	global_load_b64 v[10:11], v[6:7], off
	global_load_b32 v4, v0, s[10:11] scale_offset
	s_wait_loadcnt 0x1
	s_wait_xcnt 0x1
	v_subrev_nc_u32_e32 v6, s28, v10
	v_subrev_nc_u32_e32 v7, s28, v11
	s_delay_alu instid0(VALU_DEP_2) | instskip(SKIP_1) | instid1(VALU_DEP_1)
	v_add_nc_u32_e32 v8, v6, v12
	s_wait_xcnt 0x0
	v_cmpx_lt_i32_e64 v8, v7
	s_cbranch_execz .LBB7_30
; %bb.8:
	v_mov_b32_e32 v9, -1
	s_mov_b32 s14, 0
	s_branch .LBB7_10
.LBB7_9:                                ;   in Loop: Header=BB7_10 Depth=1
	s_or_b32 exec_lo, exec_lo, s15
	v_add_nc_u32_e32 v8, 64, v8
	s_delay_alu instid0(VALU_DEP_1) | instskip(SKIP_1) | instid1(SALU_CYCLE_1)
	v_cmp_ge_i32_e32 vcc_lo, v8, v7
	s_or_b32 s14, vcc_lo, s14
	s_and_not1_b32 exec_lo, exec_lo, s14
	s_cbranch_execz .LBB7_30
.LBB7_10:                               ; =>This Loop Header: Depth=1
                                        ;     Child Loop BB7_19 Depth 2
	global_load_b32 v10, v8, s[6:7] scale_offset
	v_mov_b32_e32 v11, 64
	s_mov_b32 s15, 0
                                        ; implicit-def: $sgpr22
                                        ; implicit-def: $sgpr23
                                        ; implicit-def: $sgpr24
	s_wait_loadcnt 0x0
	v_mul_lo_u32 v15, v10, 39
	s_branch .LBB7_19
.LBB7_11:                               ;   in Loop: Header=BB7_19 Depth=2
	s_or_b32 exec_lo, exec_lo, s38
	s_delay_alu instid0(SALU_CYCLE_1)
	s_or_not1_b32 s36, s36, exec_lo
	s_or_not1_b32 s37, s37, exec_lo
.LBB7_12:                               ;   in Loop: Header=BB7_19 Depth=2
	s_or_b32 exec_lo, exec_lo, s35
	s_delay_alu instid0(SALU_CYCLE_1)
	s_and_b32 s36, s36, exec_lo
	s_or_not1_b32 s35, s37, exec_lo
.LBB7_13:                               ;   in Loop: Header=BB7_19 Depth=2
	s_or_b32 exec_lo, exec_lo, s34
	s_delay_alu instid0(SALU_CYCLE_1)
	s_or_not1_b32 s34, s36, exec_lo
	s_or_not1_b32 s35, s35, exec_lo
.LBB7_14:                               ;   in Loop: Header=BB7_19 Depth=2
	s_or_b32 exec_lo, exec_lo, s33
	s_delay_alu instid0(SALU_CYCLE_1)
	s_and_b32 s34, s34, exec_lo
	s_or_not1_b32 s33, s35, exec_lo
.LBB7_15:                               ;   in Loop: Header=BB7_19 Depth=2
	s_or_b32 exec_lo, exec_lo, s31
	s_delay_alu instid0(SALU_CYCLE_1)
	s_or_not1_b32 s31, s34, exec_lo
	s_or_not1_b32 s33, s33, exec_lo
.LBB7_16:                               ;   in Loop: Header=BB7_19 Depth=2
	s_or_b32 exec_lo, exec_lo, s27
	s_delay_alu instid0(SALU_CYCLE_1)
	s_and_b32 s31, s31, exec_lo
	s_or_not1_b32 s27, s33, exec_lo
.LBB7_17:                               ;   in Loop: Header=BB7_19 Depth=2
	s_or_b32 exec_lo, exec_lo, s26
	s_delay_alu instid0(SALU_CYCLE_1)
	s_and_not1_b32 s24, s24, exec_lo
	s_and_b32 s26, s31, exec_lo
	s_and_not1_b32 s23, s23, exec_lo
	s_and_b32 s27, s27, exec_lo
	s_or_b32 s24, s24, s26
	s_or_b32 s23, s23, s27
.LBB7_18:                               ;   in Loop: Header=BB7_19 Depth=2
	s_or_b32 exec_lo, exec_lo, s25
	s_delay_alu instid0(SALU_CYCLE_1) | instskip(NEXT) | instid1(SALU_CYCLE_1)
	s_and_b32 s25, exec_lo, s23
	s_or_b32 s15, s25, s15
	s_and_not1_b32 s22, s22, exec_lo
	s_and_b32 s25, s24, exec_lo
	s_delay_alu instid0(SALU_CYCLE_1)
	s_or_b32 s22, s22, s25
	s_and_not1_b32 exec_lo, exec_lo, s15
	s_cbranch_execz .LBB7_28
.LBB7_19:                               ;   Parent Loop BB7_10 Depth=1
                                        ; =>  This Inner Loop Header: Depth=2
	s_delay_alu instid0(VALU_DEP_1) | instskip(SKIP_3) | instid1(VALU_DEP_1)
	v_and_b32_e32 v14, 63, v15
	s_or_b32 s24, s24, exec_lo
	s_or_b32 s23, s23, exec_lo
	s_mov_b32 s25, exec_lo
	v_lshl_add_u32 v16, v14, 2, v5
	ds_load_b32 v17, v16
	s_wait_dscnt 0x0
	s_wait_xcnt 0x0
	v_cmpx_ne_u32_e64 v17, v10
	s_cbranch_execz .LBB7_18
; %bb.20:                               ;   in Loop: Header=BB7_19 Depth=2
	ds_cmpstore_rtn_b32 v16, v16, v10, v9
	s_mov_b32 s27, -1
	s_mov_b32 s31, 0
	s_mov_b32 s26, exec_lo
	s_wait_dscnt 0x0
	v_cmpx_ne_u32_e32 -1, v16
	s_cbranch_execz .LBB7_17
; %bb.21:                               ;   in Loop: Header=BB7_19 Depth=2
	v_add_nc_u32_e32 v14, 1, v15
	s_mov_b32 s33, -1
	s_mov_b32 s31, -1
	s_mov_b32 s27, exec_lo
	s_delay_alu instid0(VALU_DEP_1) | instskip(NEXT) | instid1(VALU_DEP_1)
	v_and_b32_e32 v14, 63, v14
	v_lshl_add_u32 v16, v14, 2, v5
	ds_load_b32 v17, v16
	s_wait_dscnt 0x0
	v_cmpx_ne_u32_e64 v17, v10
	s_cbranch_execz .LBB7_16
; %bb.22:                               ;   in Loop: Header=BB7_19 Depth=2
	ds_cmpstore_rtn_b32 v16, v16, v10, v9
	s_mov_b32 s34, 0
	s_mov_b32 s31, exec_lo
	s_wait_dscnt 0x0
	v_cmpx_ne_u32_e32 -1, v16
	s_cbranch_execz .LBB7_15
; %bb.23:                               ;   in Loop: Header=BB7_19 Depth=2
	v_add_nc_u32_e32 v14, 2, v15
	s_mov_b32 s35, -1
	s_mov_b32 s34, -1
	s_mov_b32 s33, exec_lo
	s_delay_alu instid0(VALU_DEP_1) | instskip(NEXT) | instid1(VALU_DEP_1)
	v_and_b32_e32 v14, 63, v14
	v_lshl_add_u32 v16, v14, 2, v5
	ds_load_b32 v17, v16
	s_wait_dscnt 0x0
	v_cmpx_ne_u32_e64 v17, v10
	s_cbranch_execz .LBB7_14
; %bb.24:                               ;   in Loop: Header=BB7_19 Depth=2
	ds_cmpstore_rtn_b32 v16, v16, v10, v9
	s_mov_b32 s36, 0
	s_mov_b32 s34, exec_lo
	s_wait_dscnt 0x0
	v_cmpx_ne_u32_e32 -1, v16
	s_cbranch_execz .LBB7_13
; %bb.25:                               ;   in Loop: Header=BB7_19 Depth=2
	v_add_nc_u32_e32 v14, 3, v15
	s_mov_b32 s37, -1
	s_mov_b32 s36, -1
	s_delay_alu instid0(VALU_DEP_1) | instskip(NEXT) | instid1(VALU_DEP_1)
	v_and_b32_e32 v14, 63, v14
	v_lshl_add_u32 v16, v14, 2, v5
	ds_load_b32 v15, v16
	s_wait_dscnt 0x0
	v_cmp_ne_u32_e32 vcc_lo, v15, v10
                                        ; implicit-def: $vgpr15
	s_and_saveexec_b32 s35, vcc_lo
	s_cbranch_execz .LBB7_12
; %bb.26:                               ;   in Loop: Header=BB7_19 Depth=2
	ds_cmpstore_rtn_b32 v15, v16, v10, v9
	s_mov_b32 s36, 0
	s_wait_dscnt 0x0
	v_cmp_ne_u32_e32 vcc_lo, -1, v15
                                        ; implicit-def: $vgpr15
	s_and_saveexec_b32 s38, vcc_lo
	s_cbranch_execz .LBB7_11
; %bb.27:                               ;   in Loop: Header=BB7_19 Depth=2
	v_dual_add_nc_u32 v11, -4, v11 :: v_dual_add_nc_u32 v15, 1, v14
	s_mov_b32 s36, exec_lo
	s_delay_alu instid0(VALU_DEP_1)
	v_cmp_eq_u32_e32 vcc_lo, 0, v11
	s_or_not1_b32 s37, vcc_lo, exec_lo
	s_branch .LBB7_11
.LBB7_28:                               ;   in Loop: Header=BB7_10 Depth=1
	s_or_b32 exec_lo, exec_lo, s15
	s_xor_b32 s15, s22, -1
	s_delay_alu instid0(SALU_CYCLE_1) | instskip(NEXT) | instid1(SALU_CYCLE_1)
	s_and_saveexec_b32 s22, s15
	s_xor_b32 s15, exec_lo, s22
	s_cbranch_execz .LBB7_9
; %bb.29:                               ;   in Loop: Header=BB7_10 Depth=1
	v_lshl_add_u32 v10, v14, 2, v13
	ds_store_b32 v10, v8
	s_branch .LBB7_9
.LBB7_30:
	s_or_b32 exec_lo, exec_lo, s2
	s_delay_alu instid0(SALU_CYCLE_1)
	s_mov_b32 s2, exec_lo
	s_wait_loadcnt_dscnt 0x0
	v_cmpx_lt_i32_e64 v6, v4
	s_cbranch_execz .LBB7_60
; %bb.31:
	v_add_nc_u32_e32 v14, 1, v12
	s_mov_b32 s14, 0
	s_branch .LBB7_34
.LBB7_32:                               ;   in Loop: Header=BB7_34 Depth=1
	s_or_b32 exec_lo, exec_lo, s22
	v_add_nc_u32_e32 v6, 1, v6
	s_delay_alu instid0(VALU_DEP_1)
	v_cmp_ge_i32_e32 vcc_lo, v6, v4
	s_or_not1_b32 s22, vcc_lo, exec_lo
.LBB7_33:                               ;   in Loop: Header=BB7_34 Depth=1
	s_or_b32 exec_lo, exec_lo, s15
	s_delay_alu instid0(SALU_CYCLE_1) | instskip(NEXT) | instid1(SALU_CYCLE_1)
	s_and_b32 s15, exec_lo, s22
	s_or_b32 s14, s15, s14
	s_delay_alu instid0(SALU_CYCLE_1)
	s_and_not1_b32 exec_lo, exec_lo, s14
	s_cbranch_execz .LBB7_60
.LBB7_34:                               ; =>This Loop Header: Depth=1
                                        ;     Child Loop BB7_35 Depth 2
                                        ;     Child Loop BB7_40 Depth 2
                                        ;       Child Loop BB7_49 Depth 3
	s_clause 0x1
	global_load_b32 v7, v6, s[6:7] scale_offset
	global_load_b32 v15, v6, s[8:9] scale_offset
	s_mov_b32 s15, 0
	s_wait_loadcnt 0x1
	v_subrev_nc_u32_e32 v8, s28, v7
	v_ashrrev_i32_e32 v7, 31, v6
	s_clause 0x1
	global_load_b32 v17, v8, s[4:5] offset:4 scale_offset
	global_load_b32 v16, v8, s[10:11] scale_offset
	v_ashrrev_i32_e32 v9, 31, v8
	v_lshl_add_u64 v[10:11], v[6:7], 2, s[8:9]
	s_wait_xcnt 0x0
	s_delay_alu instid0(VALU_DEP_2)
	v_lshl_add_u64 v[8:9], v[8:9], 2, s[12:13]
.LBB7_35:                               ;   Parent Loop BB7_34 Depth=1
                                        ; =>  This Inner Loop Header: Depth=2
	global_load_b32 v7, v[8:9], off scope:SCOPE_DEV
	s_wait_loadcnt 0x0
	v_cmp_ne_u32_e32 vcc_lo, 0, v7
	s_or_b32 s15, vcc_lo, s15
	s_wait_xcnt 0x0
	s_and_not1_b32 exec_lo, exec_lo, s15
	s_cbranch_execnz .LBB7_35
; %bb.36:                               ;   in Loop: Header=BB7_34 Depth=1
	s_or_b32 exec_lo, exec_lo, s15
	v_subrev_nc_u32_e32 v7, s28, v17
	v_cmp_eq_u32_e32 vcc_lo, -1, v16
	global_inv scope:SCOPE_DEV
	s_mov_b32 s22, -1
	s_mov_b32 s15, exec_lo
	v_add_nc_u32_e32 v8, -1, v7
	s_delay_alu instid0(VALU_DEP_1)
	v_cndmask_b32_e32 v8, v16, v8, vcc_lo
	global_load_b32 v9, v8, s[8:9] scale_offset
	s_wait_loadcnt 0x0
	s_wait_xcnt 0x0
	v_cmpx_neq_f32_e32 0, v9
	s_cbranch_execz .LBB7_33
; %bb.37:                               ;   in Loop: Header=BB7_34 Depth=1
	v_div_scale_f32 v16, null, v9, v9, v15
	s_mov_b32 s22, exec_lo
	v_add_nc_u32_e32 v8, v14, v8
	v_rcp_f32_e32 v17, v16
	v_nop
	s_delay_alu instid0(TRANS32_DEP_1) | instskip(NEXT) | instid1(VALU_DEP_1)
	v_fma_f32 v18, -v16, v17, 1.0
	v_fmac_f32_e32 v17, v18, v17
	v_div_scale_f32 v18, vcc_lo, v15, v9, v15
	s_delay_alu instid0(VALU_DEP_1) | instskip(NEXT) | instid1(VALU_DEP_1)
	v_mul_f32_e32 v19, v18, v17
	v_fma_f32 v20, -v16, v19, v18
	s_delay_alu instid0(VALU_DEP_1) | instskip(NEXT) | instid1(VALU_DEP_1)
	v_fmac_f32_e32 v19, v20, v17
	v_fma_f32 v16, -v16, v19, v18
	s_delay_alu instid0(VALU_DEP_1) | instskip(NEXT) | instid1(VALU_DEP_1)
	v_div_fmas_f32 v16, v16, v17, v19
	v_div_fixup_f32 v15, v16, v9, v15
	global_store_b32 v[10:11], v15, off
	s_wait_xcnt 0x0
	v_cmpx_lt_i32_e64 v8, v7
	s_cbranch_execz .LBB7_32
; %bb.38:                               ;   in Loop: Header=BB7_34 Depth=1
	s_mov_b32 s23, 0
	s_branch .LBB7_40
.LBB7_39:                               ;   in Loop: Header=BB7_40 Depth=2
	s_wait_xcnt 0x0
	s_or_b32 exec_lo, exec_lo, s24
	v_add_nc_u32_e32 v8, 64, v8
	s_delay_alu instid0(VALU_DEP_1) | instskip(SKIP_1) | instid1(SALU_CYCLE_1)
	v_cmp_ge_i32_e32 vcc_lo, v8, v7
	s_or_b32 s23, vcc_lo, s23
	s_and_not1_b32 exec_lo, exec_lo, s23
	s_cbranch_execz .LBB7_32
.LBB7_40:                               ;   Parent Loop BB7_34 Depth=1
                                        ; =>  This Loop Header: Depth=2
                                        ;       Child Loop BB7_49 Depth 3
	global_load_b32 v10, v8, s[6:7] scale_offset
	v_dual_ashrrev_i32 v9, 31, v8 :: v_dual_mov_b32 v11, 64
	s_mov_b32 s24, 0
                                        ; implicit-def: $sgpr25
                                        ; implicit-def: $sgpr26
                                        ; implicit-def: $sgpr27
	s_wait_loadcnt 0x0
	v_mul_lo_u32 v17, v10, 39
	s_branch .LBB7_49
.LBB7_41:                               ;   in Loop: Header=BB7_49 Depth=3
	s_or_b32 exec_lo, exec_lo, s41
	s_delay_alu instid0(SALU_CYCLE_1)
	s_or_not1_b32 s39, s39, exec_lo
	s_or_not1_b32 s40, s40, exec_lo
.LBB7_42:                               ;   in Loop: Header=BB7_49 Depth=3
	s_or_b32 exec_lo, exec_lo, s38
	s_delay_alu instid0(SALU_CYCLE_1)
	s_and_b32 s39, s39, exec_lo
	s_or_not1_b32 s38, s40, exec_lo
.LBB7_43:                               ;   in Loop: Header=BB7_49 Depth=3
	s_or_b32 exec_lo, exec_lo, s37
	s_delay_alu instid0(SALU_CYCLE_1)
	s_or_not1_b32 s37, s39, exec_lo
	s_or_not1_b32 s38, s38, exec_lo
.LBB7_44:                               ;   in Loop: Header=BB7_49 Depth=3
	s_or_b32 exec_lo, exec_lo, s36
	s_delay_alu instid0(SALU_CYCLE_1)
	s_and_b32 s37, s37, exec_lo
	s_or_not1_b32 s36, s38, exec_lo
.LBB7_45:                               ;   in Loop: Header=BB7_49 Depth=3
	s_or_b32 exec_lo, exec_lo, s35
	s_delay_alu instid0(SALU_CYCLE_1)
	s_or_not1_b32 s35, s37, exec_lo
	s_or_not1_b32 s36, s36, exec_lo
.LBB7_46:                               ;   in Loop: Header=BB7_49 Depth=3
	s_or_b32 exec_lo, exec_lo, s34
	s_delay_alu instid0(SALU_CYCLE_1)
	s_and_b32 s35, s35, exec_lo
	s_or_not1_b32 s34, s36, exec_lo
.LBB7_47:                               ;   in Loop: Header=BB7_49 Depth=3
	s_or_b32 exec_lo, exec_lo, s33
	s_delay_alu instid0(SALU_CYCLE_1)
	s_and_not1_b32 s27, s27, exec_lo
	s_and_b32 s33, s35, exec_lo
	s_and_not1_b32 s26, s26, exec_lo
	s_and_b32 s34, s34, exec_lo
	s_or_b32 s27, s27, s33
	s_or_b32 s26, s26, s34
.LBB7_48:                               ;   in Loop: Header=BB7_49 Depth=3
	s_or_b32 exec_lo, exec_lo, s31
	s_delay_alu instid0(SALU_CYCLE_1) | instskip(NEXT) | instid1(SALU_CYCLE_1)
	s_and_b32 s31, exec_lo, s26
	s_or_b32 s24, s31, s24
	s_and_not1_b32 s25, s25, exec_lo
	s_and_b32 s31, s27, exec_lo
	s_delay_alu instid0(SALU_CYCLE_1)
	s_or_b32 s25, s25, s31
	s_and_not1_b32 exec_lo, exec_lo, s24
	s_cbranch_execz .LBB7_58
.LBB7_49:                               ;   Parent Loop BB7_34 Depth=1
                                        ;     Parent Loop BB7_40 Depth=2
                                        ; =>    This Inner Loop Header: Depth=3
	s_delay_alu instid0(VALU_DEP_1) | instskip(SKIP_3) | instid1(VALU_DEP_1)
	v_and_b32_e32 v16, 63, v17
	s_or_b32 s27, s27, exec_lo
	s_or_b32 s26, s26, exec_lo
	s_mov_b32 s31, exec_lo
	v_lshl_add_u32 v18, v16, 2, v5
	ds_load_b32 v18, v18
	s_wait_dscnt 0x0
	s_wait_xcnt 0x0
	v_cmpx_ne_u32_e32 -1, v18
	s_cbranch_execz .LBB7_48
; %bb.50:                               ;   in Loop: Header=BB7_49 Depth=3
	s_mov_b32 s34, -1
	s_mov_b32 s35, 0
	s_mov_b32 s33, exec_lo
	v_cmpx_ne_u32_e64 v18, v10
	s_cbranch_execz .LBB7_47
; %bb.51:                               ;   in Loop: Header=BB7_49 Depth=3
	v_add_nc_u32_e32 v16, 1, v17
	s_mov_b32 s36, -1
	s_mov_b32 s35, -1
	s_mov_b32 s34, exec_lo
	s_delay_alu instid0(VALU_DEP_1) | instskip(NEXT) | instid1(VALU_DEP_1)
	v_and_b32_e32 v16, 63, v16
	v_lshl_add_u32 v18, v16, 2, v5
	ds_load_b32 v18, v18
	s_wait_dscnt 0x0
	v_cmpx_ne_u32_e32 -1, v18
	s_cbranch_execz .LBB7_46
; %bb.52:                               ;   in Loop: Header=BB7_49 Depth=3
	s_mov_b32 s37, 0
	s_mov_b32 s35, exec_lo
	v_cmpx_ne_u32_e64 v18, v10
	s_cbranch_execz .LBB7_45
; %bb.53:                               ;   in Loop: Header=BB7_49 Depth=3
	v_add_nc_u32_e32 v16, 2, v17
	s_mov_b32 s38, -1
	s_mov_b32 s37, -1
	s_mov_b32 s36, exec_lo
	s_delay_alu instid0(VALU_DEP_1) | instskip(NEXT) | instid1(VALU_DEP_1)
	v_and_b32_e32 v16, 63, v16
	v_lshl_add_u32 v18, v16, 2, v5
	ds_load_b32 v18, v18
	s_wait_dscnt 0x0
	v_cmpx_ne_u32_e32 -1, v18
	s_cbranch_execz .LBB7_44
; %bb.54:                               ;   in Loop: Header=BB7_49 Depth=3
	s_mov_b32 s39, 0
	s_mov_b32 s37, exec_lo
	v_cmpx_ne_u32_e64 v18, v10
	s_cbranch_execz .LBB7_43
; %bb.55:                               ;   in Loop: Header=BB7_49 Depth=3
	v_add_nc_u32_e32 v16, 3, v17
	s_mov_b32 s40, -1
	s_mov_b32 s39, -1
	s_mov_b32 s38, exec_lo
	s_delay_alu instid0(VALU_DEP_1) | instskip(NEXT) | instid1(VALU_DEP_1)
	v_and_b32_e32 v16, 63, v16
	v_lshl_add_u32 v17, v16, 2, v5
	ds_load_b32 v18, v17
                                        ; implicit-def: $vgpr17
	s_wait_dscnt 0x0
	v_cmpx_ne_u32_e32 -1, v18
	s_cbranch_execz .LBB7_42
; %bb.56:                               ;   in Loop: Header=BB7_49 Depth=3
	s_mov_b32 s39, 0
	s_mov_b32 s41, exec_lo
                                        ; implicit-def: $vgpr17
	v_cmpx_ne_u32_e64 v18, v10
	s_cbranch_execz .LBB7_41
; %bb.57:                               ;   in Loop: Header=BB7_49 Depth=3
	v_dual_add_nc_u32 v11, -4, v11 :: v_dual_add_nc_u32 v17, 1, v16
	s_mov_b32 s39, exec_lo
	s_delay_alu instid0(VALU_DEP_1)
	v_cmp_eq_u32_e32 vcc_lo, 0, v11
	s_or_not1_b32 s40, vcc_lo, exec_lo
	s_branch .LBB7_41
.LBB7_58:                               ;   in Loop: Header=BB7_40 Depth=2
	s_or_b32 exec_lo, exec_lo, s24
	s_xor_b32 s24, s25, -1
	s_delay_alu instid0(SALU_CYCLE_1) | instskip(NEXT) | instid1(SALU_CYCLE_1)
	s_and_saveexec_b32 s25, s24
	s_xor_b32 s24, exec_lo, s25
	s_cbranch_execz .LBB7_39
; %bb.59:                               ;   in Loop: Header=BB7_40 Depth=2
	v_lshl_add_u32 v10, v16, 2, v13
	ds_load_b32 v16, v10
	v_lshl_add_u64 v[10:11], v[8:9], 2, s[8:9]
	global_load_b32 v9, v[10:11], off
	s_wait_dscnt 0x0
	global_load_b32 v17, v16, s[8:9] scale_offset
	s_wait_loadcnt 0x0
	v_fma_f32 v9, -v15, v9, v17
	global_store_b32 v16, v9, s[8:9] scale_offset
	s_branch .LBB7_39
.LBB7_60:
	s_or_b32 exec_lo, exec_lo, s2
	s_mov_b32 s5, -1
	s_mov_b32 s4, exec_lo
	s_wait_storecnt 0x0
	v_cmpx_lt_i32_e32 -1, v4
	s_cbranch_execz .LBB7_76
; %bb.61:
	global_load_b32 v8, v4, s[8:9] scale_offset
	v_cmp_eq_u32_e64 s2, 0, v12
	s_wait_loadcnt 0x0
	v_cmp_gt_f32_e32 vcc_lo, 0, v8
	v_cndmask_b32_e64 v5, v8, -v8, vcc_lo
	s_and_not1_b32 vcc_lo, exec_lo, s29
	s_delay_alu instid0(VALU_DEP_1)
	v_cvt_f64_f32_e32 v[6:7], v5
	s_cbranch_vccnz .LBB7_65
; %bb.62:
	v_cvt_f64_f32_e32 v[10:11], s30
	s_cmp_eq_u64 s[20:21], 8
	s_cselect_b32 vcc_lo, -1, 0
	s_delay_alu instid0(VALU_DEP_1) | instskip(NEXT) | instid1(VALU_DEP_1)
	v_dual_cndmask_b32 v3, v11, v3 :: v_dual_cndmask_b32 v2, v10, v2
	v_cmp_ge_f64_e32 vcc_lo, v[2:3], v[6:7]
	s_and_b32 s6, s2, vcc_lo
	s_delay_alu instid0(SALU_CYCLE_1)
	s_and_saveexec_b32 s5, s6
	s_cbranch_execz .LBB7_64
; %bb.63:
	v_dual_mov_b32 v5, 0 :: v_dual_mov_b32 v9, s3
	s_delay_alu instid0(VALU_DEP_1)
	v_lshl_add_u64 v[2:3], v[4:5], 2, s[8:9]
	global_store_b32 v[2:3], v9, off
	global_wb scope:SCOPE_DEV
	s_wait_storecnt 0x0
	global_inv scope:SCOPE_DEV
.LBB7_64:
	s_wait_xcnt 0x0
	s_or_b32 exec_lo, exec_lo, s5
	s_mov_b32 s5, 0
.LBB7_65:
	s_delay_alu instid0(SALU_CYCLE_1)
	s_and_not1_b32 vcc_lo, exec_lo, s5
	s_cbranch_vccnz .LBB7_76
; %bb.66:
	s_load_b64 s[0:1], s[0:1], 0x48
	v_add_nc_u32_e32 v2, s28, v0
	s_wait_kmcnt 0x0
	s_delay_alu instid0(VALU_DEP_2) | instskip(SKIP_1) | instid1(SALU_CYCLE_1)
	v_cmp_ge_f64_e32 vcc_lo, s[0:1], v[6:7]
	s_and_b32 s1, s2, vcc_lo
	s_and_saveexec_b32 s0, s1
	s_cbranch_execz .LBB7_71
; %bb.67:
	s_mov_b32 s3, exec_lo
	s_brev_b32 s1, -2
.LBB7_68:                               ; =>This Inner Loop Header: Depth=1
	s_ctz_i32_b32 s5, s3
	s_delay_alu instid0(SALU_CYCLE_1) | instskip(SKIP_1) | instid1(SALU_CYCLE_1)
	v_readlane_b32 s6, v2, s5
	s_lshl_b32 s5, 1, s5
	s_and_not1_b32 s3, s3, s5
	s_min_i32 s1, s1, s6
	s_cmp_lg_u32 s3, 0
	s_cbranch_scc1 .LBB7_68
; %bb.69:
	v_mbcnt_lo_u32_b32 v3, exec_lo, 0
	s_mov_b32 s3, exec_lo
	s_delay_alu instid0(VALU_DEP_1)
	v_cmpx_eq_u32_e32 0, v3
	s_xor_b32 s3, exec_lo, s3
	s_cbranch_execz .LBB7_71
; %bb.70:
	v_dual_mov_b32 v3, 0 :: v_dual_mov_b32 v4, s1
	global_atomic_min_i32 v3, v4, s[18:19] scope:SCOPE_DEV
.LBB7_71:
	s_wait_xcnt 0x0
	s_or_b32 exec_lo, exec_lo, s0
	v_cmp_eq_f32_e32 vcc_lo, 0, v8
	s_and_b32 s0, s2, vcc_lo
	s_delay_alu instid0(SALU_CYCLE_1)
	s_and_b32 exec_lo, exec_lo, s0
	s_cbranch_execz .LBB7_76
; %bb.72:
	s_mov_b32 s1, exec_lo
	s_brev_b32 s0, -2
.LBB7_73:                               ; =>This Inner Loop Header: Depth=1
	s_ctz_i32_b32 s2, s1
	s_delay_alu instid0(SALU_CYCLE_1) | instskip(SKIP_1) | instid1(SALU_CYCLE_1)
	v_readlane_b32 s3, v2, s2
	s_lshl_b32 s2, 1, s2
	s_and_not1_b32 s1, s1, s2
	s_min_i32 s0, s0, s3
	s_cmp_lg_u32 s1, 0
	s_cbranch_scc1 .LBB7_73
; %bb.74:
	v_mbcnt_lo_u32_b32 v2, exec_lo, 0
	s_mov_b32 s1, exec_lo
	s_delay_alu instid0(VALU_DEP_1)
	v_cmpx_eq_u32_e32 0, v2
	s_xor_b32 s1, exec_lo, s1
	s_cbranch_execz .LBB7_76
; %bb.75:
	v_dual_mov_b32 v2, 0 :: v_dual_mov_b32 v3, s0
	global_atomic_min_i32 v2, v3, s[16:17] scope:SCOPE_DEV
.LBB7_76:
	s_wait_xcnt 0x0
	s_or_b32 exec_lo, exec_lo, s4
	v_cmp_eq_u32_e32 vcc_lo, 0, v12
	global_wb scope:SCOPE_DEV
	s_wait_loadcnt 0x0
	s_wait_storecnt 0x0
	global_inv scope:SCOPE_DEV
	s_and_b32 exec_lo, exec_lo, vcc_lo
	s_cbranch_execz .LBB7_78
; %bb.77:
	v_lshl_add_u64 v[0:1], v[0:1], 2, s[12:13]
	v_mov_b32_e32 v2, 1
	global_wb scope:SCOPE_DEV
	s_wait_loadcnt 0x0
	s_wait_storecnt 0x0
	global_store_b32 v[0:1], v2, off scope:SCOPE_DEV
.LBB7_78:
	s_endpgm
	.section	.rodata,"a",@progbits
	.p2align	6, 0x0
	.amdhsa_kernel _ZN9rocsparseL12csrilu0_hashILj256ELj64ELj1EfEEviPKiS2_PT2_S2_PiS2_S5_S5_d21rocsparse_index_base_imNS_24const_host_device_scalarIfEENS7_IdEENS7_IS3_EEb
		.amdhsa_group_segment_fixed_size 2048
		.amdhsa_private_segment_fixed_size 0
		.amdhsa_kernarg_size 124
		.amdhsa_user_sgpr_count 2
		.amdhsa_user_sgpr_dispatch_ptr 0
		.amdhsa_user_sgpr_queue_ptr 0
		.amdhsa_user_sgpr_kernarg_segment_ptr 1
		.amdhsa_user_sgpr_dispatch_id 0
		.amdhsa_user_sgpr_kernarg_preload_length 0
		.amdhsa_user_sgpr_kernarg_preload_offset 0
		.amdhsa_user_sgpr_private_segment_size 0
		.amdhsa_wavefront_size32 1
		.amdhsa_uses_dynamic_stack 0
		.amdhsa_enable_private_segment 0
		.amdhsa_system_sgpr_workgroup_id_x 1
		.amdhsa_system_sgpr_workgroup_id_y 0
		.amdhsa_system_sgpr_workgroup_id_z 0
		.amdhsa_system_sgpr_workgroup_info 0
		.amdhsa_system_vgpr_workitem_id 0
		.amdhsa_next_free_vgpr 21
		.amdhsa_next_free_sgpr 42
		.amdhsa_named_barrier_count 0
		.amdhsa_reserve_vcc 1
		.amdhsa_float_round_mode_32 0
		.amdhsa_float_round_mode_16_64 0
		.amdhsa_float_denorm_mode_32 3
		.amdhsa_float_denorm_mode_16_64 3
		.amdhsa_fp16_overflow 0
		.amdhsa_memory_ordered 1
		.amdhsa_forward_progress 1
		.amdhsa_inst_pref_size 22
		.amdhsa_round_robin_scheduling 0
		.amdhsa_exception_fp_ieee_invalid_op 0
		.amdhsa_exception_fp_denorm_src 0
		.amdhsa_exception_fp_ieee_div_zero 0
		.amdhsa_exception_fp_ieee_overflow 0
		.amdhsa_exception_fp_ieee_underflow 0
		.amdhsa_exception_fp_ieee_inexact 0
		.amdhsa_exception_int_div_zero 0
	.end_amdhsa_kernel
	.section	.text._ZN9rocsparseL12csrilu0_hashILj256ELj64ELj1EfEEviPKiS2_PT2_S2_PiS2_S5_S5_d21rocsparse_index_base_imNS_24const_host_device_scalarIfEENS7_IdEENS7_IS3_EEb,"axG",@progbits,_ZN9rocsparseL12csrilu0_hashILj256ELj64ELj1EfEEviPKiS2_PT2_S2_PiS2_S5_S5_d21rocsparse_index_base_imNS_24const_host_device_scalarIfEENS7_IdEENS7_IS3_EEb,comdat
.Lfunc_end7:
	.size	_ZN9rocsparseL12csrilu0_hashILj256ELj64ELj1EfEEviPKiS2_PT2_S2_PiS2_S5_S5_d21rocsparse_index_base_imNS_24const_host_device_scalarIfEENS7_IdEENS7_IS3_EEb, .Lfunc_end7-_ZN9rocsparseL12csrilu0_hashILj256ELj64ELj1EfEEviPKiS2_PT2_S2_PiS2_S5_S5_d21rocsparse_index_base_imNS_24const_host_device_scalarIfEENS7_IdEENS7_IS3_EEb
                                        ; -- End function
	.set _ZN9rocsparseL12csrilu0_hashILj256ELj64ELj1EfEEviPKiS2_PT2_S2_PiS2_S5_S5_d21rocsparse_index_base_imNS_24const_host_device_scalarIfEENS7_IdEENS7_IS3_EEb.num_vgpr, 21
	.set _ZN9rocsparseL12csrilu0_hashILj256ELj64ELj1EfEEviPKiS2_PT2_S2_PiS2_S5_S5_d21rocsparse_index_base_imNS_24const_host_device_scalarIfEENS7_IdEENS7_IS3_EEb.num_agpr, 0
	.set _ZN9rocsparseL12csrilu0_hashILj256ELj64ELj1EfEEviPKiS2_PT2_S2_PiS2_S5_S5_d21rocsparse_index_base_imNS_24const_host_device_scalarIfEENS7_IdEENS7_IS3_EEb.numbered_sgpr, 42
	.set _ZN9rocsparseL12csrilu0_hashILj256ELj64ELj1EfEEviPKiS2_PT2_S2_PiS2_S5_S5_d21rocsparse_index_base_imNS_24const_host_device_scalarIfEENS7_IdEENS7_IS3_EEb.num_named_barrier, 0
	.set _ZN9rocsparseL12csrilu0_hashILj256ELj64ELj1EfEEviPKiS2_PT2_S2_PiS2_S5_S5_d21rocsparse_index_base_imNS_24const_host_device_scalarIfEENS7_IdEENS7_IS3_EEb.private_seg_size, 0
	.set _ZN9rocsparseL12csrilu0_hashILj256ELj64ELj1EfEEviPKiS2_PT2_S2_PiS2_S5_S5_d21rocsparse_index_base_imNS_24const_host_device_scalarIfEENS7_IdEENS7_IS3_EEb.uses_vcc, 1
	.set _ZN9rocsparseL12csrilu0_hashILj256ELj64ELj1EfEEviPKiS2_PT2_S2_PiS2_S5_S5_d21rocsparse_index_base_imNS_24const_host_device_scalarIfEENS7_IdEENS7_IS3_EEb.uses_flat_scratch, 0
	.set _ZN9rocsparseL12csrilu0_hashILj256ELj64ELj1EfEEviPKiS2_PT2_S2_PiS2_S5_S5_d21rocsparse_index_base_imNS_24const_host_device_scalarIfEENS7_IdEENS7_IS3_EEb.has_dyn_sized_stack, 0
	.set _ZN9rocsparseL12csrilu0_hashILj256ELj64ELj1EfEEviPKiS2_PT2_S2_PiS2_S5_S5_d21rocsparse_index_base_imNS_24const_host_device_scalarIfEENS7_IdEENS7_IS3_EEb.has_recursion, 0
	.set _ZN9rocsparseL12csrilu0_hashILj256ELj64ELj1EfEEviPKiS2_PT2_S2_PiS2_S5_S5_d21rocsparse_index_base_imNS_24const_host_device_scalarIfEENS7_IdEENS7_IS3_EEb.has_indirect_call, 0
	.section	.AMDGPU.csdata,"",@progbits
; Kernel info:
; codeLenInByte = 2736
; TotalNumSgprs: 44
; NumVgprs: 21
; ScratchSize: 0
; MemoryBound: 0
; FloatMode: 240
; IeeeMode: 1
; LDSByteSize: 2048 bytes/workgroup (compile time only)
; SGPRBlocks: 0
; VGPRBlocks: 1
; NumSGPRsForWavesPerEU: 44
; NumVGPRsForWavesPerEU: 21
; NamedBarCnt: 0
; Occupancy: 16
; WaveLimiterHint : 1
; COMPUTE_PGM_RSRC2:SCRATCH_EN: 0
; COMPUTE_PGM_RSRC2:USER_SGPR: 2
; COMPUTE_PGM_RSRC2:TRAP_HANDLER: 0
; COMPUTE_PGM_RSRC2:TGID_X_EN: 1
; COMPUTE_PGM_RSRC2:TGID_Y_EN: 0
; COMPUTE_PGM_RSRC2:TGID_Z_EN: 0
; COMPUTE_PGM_RSRC2:TIDIG_COMP_CNT: 0
	.section	.text._ZN9rocsparseL12csrilu0_hashILj256ELj64ELj2EfEEviPKiS2_PT2_S2_PiS2_S5_S5_d21rocsparse_index_base_imNS_24const_host_device_scalarIfEENS7_IdEENS7_IS3_EEb,"axG",@progbits,_ZN9rocsparseL12csrilu0_hashILj256ELj64ELj2EfEEviPKiS2_PT2_S2_PiS2_S5_S5_d21rocsparse_index_base_imNS_24const_host_device_scalarIfEENS7_IdEENS7_IS3_EEb,comdat
	.globl	_ZN9rocsparseL12csrilu0_hashILj256ELj64ELj2EfEEviPKiS2_PT2_S2_PiS2_S5_S5_d21rocsparse_index_base_imNS_24const_host_device_scalarIfEENS7_IdEENS7_IS3_EEb ; -- Begin function _ZN9rocsparseL12csrilu0_hashILj256ELj64ELj2EfEEviPKiS2_PT2_S2_PiS2_S5_S5_d21rocsparse_index_base_imNS_24const_host_device_scalarIfEENS7_IdEENS7_IS3_EEb
	.p2align	8
	.type	_ZN9rocsparseL12csrilu0_hashILj256ELj64ELj2EfEEviPKiS2_PT2_S2_PiS2_S5_S5_d21rocsparse_index_base_imNS_24const_host_device_scalarIfEENS7_IdEENS7_IS3_EEb,@function
_ZN9rocsparseL12csrilu0_hashILj256ELj64ELj2EfEEviPKiS2_PT2_S2_PiS2_S5_S5_d21rocsparse_index_base_imNS_24const_host_device_scalarIfEENS7_IdEENS7_IS3_EEb: ; @_ZN9rocsparseL12csrilu0_hashILj256ELj64ELj2EfEEviPKiS2_PT2_S2_PiS2_S5_S5_d21rocsparse_index_base_imNS_24const_host_device_scalarIfEENS7_IdEENS7_IS3_EEb
; %bb.0:
	s_clause 0x2
	s_load_b32 s2, s[0:1], 0x78
	s_load_b64 s[28:29], s[0:1], 0x50
	s_load_b256 s[20:27], s[0:1], 0x58
	s_wait_kmcnt 0x0
	s_bitcmp1_b32 s2, 0
	s_cselect_b32 s2, -1, 0
	s_cmp_eq_u32 s29, 0
	s_cselect_b32 s4, -1, 0
	s_cmp_lg_u32 s29, 0
	s_cselect_b32 s29, -1, 0
	s_or_b32 s6, s4, s2
	s_delay_alu instid0(SALU_CYCLE_1)
	s_xor_b32 s5, s6, -1
	s_and_b32 s2, s4, exec_lo
	s_cselect_b32 s3, 0, s25
	s_cselect_b32 s2, 0, s24
	;; [unrolled: 1-line block ×3, first 2 shown]
	s_and_b32 vcc_lo, exec_lo, s6
	s_cbranch_vccnz .LBB8_2
; %bb.1:
	s_load_b32 s30, s[22:23], 0x0
	s_mov_b64 s[2:3], s[24:25]
.LBB8_2:
	s_delay_alu instid0(SALU_CYCLE_1)
	v_mov_b64_e32 v[2:3], s[2:3]
	v_cndmask_b32_e64 v1, 0, 1, s5
	s_and_not1_b32 vcc_lo, exec_lo, s5
	s_cbranch_vccnz .LBB8_4
; %bb.3:
	v_mov_b32_e32 v2, 0
	flat_load_b64 v[2:3], v2, s[24:25]
.LBB8_4:
	s_delay_alu instid0(VALU_DEP_1)
	v_cmp_ne_u32_e32 vcc_lo, 1, v1
	s_and_b32 s2, s4, exec_lo
	s_cselect_b32 s3, 0, s26
	s_cbranch_vccnz .LBB8_6
; %bb.5:
	s_load_b32 s3, s[26:27], 0x0
.LBB8_6:
	s_load_b32 s2, s[0:1], 0x0
	s_bfe_u32 s4, ttmp6, 0x4000c
	v_dual_lshlrev_b32 v1, 1, v0 :: v_dual_bitop2_b32 v12, 63, v0 bitop3:0x40
	s_add_co_i32 s4, s4, 1
	s_and_b32 s5, ttmp6, 15
	s_mul_i32 s4, ttmp9, s4
	s_getreg_b32 s6, hwreg(HW_REG_IB_STS2, 6, 4)
	s_add_co_i32 s5, s5, s4
	s_cmp_eq_u32 s6, 0
	v_and_b32_e32 v9, 0x180, v1
	v_dual_lshrrev_b32 v0, 6, v0 :: v_dual_mov_b32 v4, -1
	s_cselect_b32 s4, ttmp9, s5
	s_delay_alu instid0(SALU_CYCLE_1) | instskip(NEXT) | instid1(VALU_DEP_2)
	s_lshl_b32 s4, s4, 2
	v_lshl_or_b32 v5, v9, 2, 0x800
	s_delay_alu instid0(VALU_DEP_2) | instskip(NEXT) | instid1(VALU_DEP_2)
	v_and_or_b32 v0, 0x3fffffc, s4, v0
	v_lshl_or_b32 v1, v12, 2, v5
	s_wait_kmcnt 0x0
	s_delay_alu instid0(VALU_DEP_2)
	v_cmp_gt_i32_e32 vcc_lo, s2, v0
	ds_store_2addr_stride64_b32 v1, v4, v4 offset1:1
	s_wait_loadcnt_dscnt 0x0
	s_and_saveexec_b32 s2, vcc_lo
	s_cbranch_execz .LBB8_78
; %bb.7:
	s_load_b512 s[4:19], s[0:1], 0x8
	s_mov_b32 s2, exec_lo
	v_lshlrev_b32_e32 v13, 2, v9
	s_wait_kmcnt 0x0
	global_load_b32 v0, v0, s[14:15] scale_offset
	s_wait_loadcnt 0x0
	v_ashrrev_i32_e32 v1, 31, v0
	s_delay_alu instid0(VALU_DEP_1)
	v_lshl_add_u64 v[6:7], v[0:1], 2, s[4:5]
	global_load_b64 v[10:11], v[6:7], off
	global_load_b32 v4, v0, s[10:11] scale_offset
	s_wait_loadcnt 0x1
	s_wait_xcnt 0x1
	v_subrev_nc_u32_e32 v6, s28, v10
	v_subrev_nc_u32_e32 v7, s28, v11
	s_delay_alu instid0(VALU_DEP_2) | instskip(SKIP_1) | instid1(VALU_DEP_1)
	v_add_nc_u32_e32 v8, v6, v12
	s_wait_xcnt 0x0
	v_cmpx_lt_i32_e64 v8, v7
	s_cbranch_execz .LBB8_30
; %bb.8:
	v_mov_b32_e32 v9, -1
	s_mov_b32 s14, 0
	s_branch .LBB8_10
.LBB8_9:                                ;   in Loop: Header=BB8_10 Depth=1
	s_or_b32 exec_lo, exec_lo, s15
	v_add_nc_u32_e32 v8, 64, v8
	s_delay_alu instid0(VALU_DEP_1) | instskip(SKIP_1) | instid1(SALU_CYCLE_1)
	v_cmp_ge_i32_e32 vcc_lo, v8, v7
	s_or_b32 s14, vcc_lo, s14
	s_and_not1_b32 exec_lo, exec_lo, s14
	s_cbranch_execz .LBB8_30
.LBB8_10:                               ; =>This Loop Header: Depth=1
                                        ;     Child Loop BB8_19 Depth 2
	global_load_b32 v10, v8, s[6:7] scale_offset
	v_mov_b32_e32 v11, 0x80
	s_mov_b32 s15, 0
                                        ; implicit-def: $sgpr22
                                        ; implicit-def: $sgpr23
                                        ; implicit-def: $sgpr24
	s_wait_loadcnt 0x0
	v_mul_lo_u32 v15, 0x67, v10
	s_branch .LBB8_19
.LBB8_11:                               ;   in Loop: Header=BB8_19 Depth=2
	s_or_b32 exec_lo, exec_lo, s38
	s_delay_alu instid0(SALU_CYCLE_1)
	s_or_not1_b32 s36, s36, exec_lo
	s_or_not1_b32 s37, s37, exec_lo
.LBB8_12:                               ;   in Loop: Header=BB8_19 Depth=2
	s_or_b32 exec_lo, exec_lo, s35
	s_delay_alu instid0(SALU_CYCLE_1)
	s_and_b32 s36, s36, exec_lo
	s_or_not1_b32 s35, s37, exec_lo
.LBB8_13:                               ;   in Loop: Header=BB8_19 Depth=2
	s_or_b32 exec_lo, exec_lo, s34
	s_delay_alu instid0(SALU_CYCLE_1)
	s_or_not1_b32 s34, s36, exec_lo
	s_or_not1_b32 s35, s35, exec_lo
.LBB8_14:                               ;   in Loop: Header=BB8_19 Depth=2
	s_or_b32 exec_lo, exec_lo, s33
	s_delay_alu instid0(SALU_CYCLE_1)
	s_and_b32 s34, s34, exec_lo
	s_or_not1_b32 s33, s35, exec_lo
.LBB8_15:                               ;   in Loop: Header=BB8_19 Depth=2
	s_or_b32 exec_lo, exec_lo, s31
	s_delay_alu instid0(SALU_CYCLE_1)
	s_or_not1_b32 s31, s34, exec_lo
	s_or_not1_b32 s33, s33, exec_lo
.LBB8_16:                               ;   in Loop: Header=BB8_19 Depth=2
	s_or_b32 exec_lo, exec_lo, s27
	s_delay_alu instid0(SALU_CYCLE_1)
	s_and_b32 s31, s31, exec_lo
	s_or_not1_b32 s27, s33, exec_lo
.LBB8_17:                               ;   in Loop: Header=BB8_19 Depth=2
	s_or_b32 exec_lo, exec_lo, s26
	s_delay_alu instid0(SALU_CYCLE_1)
	s_and_not1_b32 s24, s24, exec_lo
	s_and_b32 s26, s31, exec_lo
	s_and_not1_b32 s23, s23, exec_lo
	s_and_b32 s27, s27, exec_lo
	s_or_b32 s24, s24, s26
	s_or_b32 s23, s23, s27
.LBB8_18:                               ;   in Loop: Header=BB8_19 Depth=2
	s_or_b32 exec_lo, exec_lo, s25
	s_delay_alu instid0(SALU_CYCLE_1) | instskip(NEXT) | instid1(SALU_CYCLE_1)
	s_and_b32 s25, exec_lo, s23
	s_or_b32 s15, s25, s15
	s_and_not1_b32 s22, s22, exec_lo
	s_and_b32 s25, s24, exec_lo
	s_delay_alu instid0(SALU_CYCLE_1)
	s_or_b32 s22, s22, s25
	s_and_not1_b32 exec_lo, exec_lo, s15
	s_cbranch_execz .LBB8_28
.LBB8_19:                               ;   Parent Loop BB8_10 Depth=1
                                        ; =>  This Inner Loop Header: Depth=2
	s_delay_alu instid0(VALU_DEP_1) | instskip(SKIP_3) | instid1(VALU_DEP_1)
	v_and_b32_e32 v14, 0x7f, v15
	s_or_b32 s24, s24, exec_lo
	s_or_b32 s23, s23, exec_lo
	s_mov_b32 s25, exec_lo
	v_lshl_add_u32 v16, v14, 2, v5
	ds_load_b32 v17, v16
	s_wait_dscnt 0x0
	s_wait_xcnt 0x0
	v_cmpx_ne_u32_e64 v17, v10
	s_cbranch_execz .LBB8_18
; %bb.20:                               ;   in Loop: Header=BB8_19 Depth=2
	ds_cmpstore_rtn_b32 v16, v16, v10, v9
	s_mov_b32 s27, -1
	s_mov_b32 s31, 0
	s_mov_b32 s26, exec_lo
	s_wait_dscnt 0x0
	v_cmpx_ne_u32_e32 -1, v16
	s_cbranch_execz .LBB8_17
; %bb.21:                               ;   in Loop: Header=BB8_19 Depth=2
	v_add_nc_u32_e32 v14, 1, v15
	s_mov_b32 s33, -1
	s_mov_b32 s31, -1
	s_mov_b32 s27, exec_lo
	s_delay_alu instid0(VALU_DEP_1) | instskip(NEXT) | instid1(VALU_DEP_1)
	v_and_b32_e32 v14, 0x7f, v14
	v_lshl_add_u32 v16, v14, 2, v5
	ds_load_b32 v17, v16
	s_wait_dscnt 0x0
	v_cmpx_ne_u32_e64 v17, v10
	s_cbranch_execz .LBB8_16
; %bb.22:                               ;   in Loop: Header=BB8_19 Depth=2
	ds_cmpstore_rtn_b32 v16, v16, v10, v9
	s_mov_b32 s34, 0
	s_mov_b32 s31, exec_lo
	s_wait_dscnt 0x0
	v_cmpx_ne_u32_e32 -1, v16
	s_cbranch_execz .LBB8_15
; %bb.23:                               ;   in Loop: Header=BB8_19 Depth=2
	v_add_nc_u32_e32 v14, 2, v15
	s_mov_b32 s35, -1
	s_mov_b32 s34, -1
	s_mov_b32 s33, exec_lo
	s_delay_alu instid0(VALU_DEP_1) | instskip(NEXT) | instid1(VALU_DEP_1)
	v_and_b32_e32 v14, 0x7f, v14
	v_lshl_add_u32 v16, v14, 2, v5
	ds_load_b32 v17, v16
	s_wait_dscnt 0x0
	v_cmpx_ne_u32_e64 v17, v10
	s_cbranch_execz .LBB8_14
; %bb.24:                               ;   in Loop: Header=BB8_19 Depth=2
	ds_cmpstore_rtn_b32 v16, v16, v10, v9
	s_mov_b32 s36, 0
	s_mov_b32 s34, exec_lo
	s_wait_dscnt 0x0
	v_cmpx_ne_u32_e32 -1, v16
	s_cbranch_execz .LBB8_13
; %bb.25:                               ;   in Loop: Header=BB8_19 Depth=2
	v_add_nc_u32_e32 v14, 3, v15
	s_mov_b32 s37, -1
	s_mov_b32 s36, -1
	s_delay_alu instid0(VALU_DEP_1) | instskip(NEXT) | instid1(VALU_DEP_1)
	v_and_b32_e32 v14, 0x7f, v14
	v_lshl_add_u32 v16, v14, 2, v5
	ds_load_b32 v15, v16
	s_wait_dscnt 0x0
	v_cmp_ne_u32_e32 vcc_lo, v15, v10
                                        ; implicit-def: $vgpr15
	s_and_saveexec_b32 s35, vcc_lo
	s_cbranch_execz .LBB8_12
; %bb.26:                               ;   in Loop: Header=BB8_19 Depth=2
	ds_cmpstore_rtn_b32 v15, v16, v10, v9
	s_mov_b32 s36, 0
	s_wait_dscnt 0x0
	v_cmp_ne_u32_e32 vcc_lo, -1, v15
                                        ; implicit-def: $vgpr15
	s_and_saveexec_b32 s38, vcc_lo
	s_cbranch_execz .LBB8_11
; %bb.27:                               ;   in Loop: Header=BB8_19 Depth=2
	v_dual_add_nc_u32 v11, -4, v11 :: v_dual_add_nc_u32 v15, 1, v14
	s_mov_b32 s36, exec_lo
	s_delay_alu instid0(VALU_DEP_1)
	v_cmp_eq_u32_e32 vcc_lo, 0, v11
	s_or_not1_b32 s37, vcc_lo, exec_lo
	s_branch .LBB8_11
.LBB8_28:                               ;   in Loop: Header=BB8_10 Depth=1
	s_or_b32 exec_lo, exec_lo, s15
	s_xor_b32 s15, s22, -1
	s_delay_alu instid0(SALU_CYCLE_1) | instskip(NEXT) | instid1(SALU_CYCLE_1)
	s_and_saveexec_b32 s22, s15
	s_xor_b32 s15, exec_lo, s22
	s_cbranch_execz .LBB8_9
; %bb.29:                               ;   in Loop: Header=BB8_10 Depth=1
	v_lshl_add_u32 v10, v14, 2, v13
	ds_store_b32 v10, v8
	s_branch .LBB8_9
.LBB8_30:
	s_or_b32 exec_lo, exec_lo, s2
	s_delay_alu instid0(SALU_CYCLE_1)
	s_mov_b32 s2, exec_lo
	s_wait_loadcnt_dscnt 0x0
	v_cmpx_lt_i32_e64 v6, v4
	s_cbranch_execz .LBB8_60
; %bb.31:
	v_add_nc_u32_e32 v14, 1, v12
	s_mov_b32 s14, 0
	s_branch .LBB8_34
.LBB8_32:                               ;   in Loop: Header=BB8_34 Depth=1
	s_or_b32 exec_lo, exec_lo, s22
	v_add_nc_u32_e32 v6, 1, v6
	s_delay_alu instid0(VALU_DEP_1)
	v_cmp_ge_i32_e32 vcc_lo, v6, v4
	s_or_not1_b32 s22, vcc_lo, exec_lo
.LBB8_33:                               ;   in Loop: Header=BB8_34 Depth=1
	s_or_b32 exec_lo, exec_lo, s15
	s_delay_alu instid0(SALU_CYCLE_1) | instskip(NEXT) | instid1(SALU_CYCLE_1)
	s_and_b32 s15, exec_lo, s22
	s_or_b32 s14, s15, s14
	s_delay_alu instid0(SALU_CYCLE_1)
	s_and_not1_b32 exec_lo, exec_lo, s14
	s_cbranch_execz .LBB8_60
.LBB8_34:                               ; =>This Loop Header: Depth=1
                                        ;     Child Loop BB8_35 Depth 2
                                        ;     Child Loop BB8_40 Depth 2
                                        ;       Child Loop BB8_49 Depth 3
	s_clause 0x1
	global_load_b32 v7, v6, s[6:7] scale_offset
	global_load_b32 v15, v6, s[8:9] scale_offset
	s_mov_b32 s15, 0
	s_wait_loadcnt 0x1
	v_subrev_nc_u32_e32 v8, s28, v7
	v_ashrrev_i32_e32 v7, 31, v6
	s_clause 0x1
	global_load_b32 v17, v8, s[4:5] offset:4 scale_offset
	global_load_b32 v16, v8, s[10:11] scale_offset
	v_ashrrev_i32_e32 v9, 31, v8
	v_lshl_add_u64 v[10:11], v[6:7], 2, s[8:9]
	s_wait_xcnt 0x0
	s_delay_alu instid0(VALU_DEP_2)
	v_lshl_add_u64 v[8:9], v[8:9], 2, s[12:13]
.LBB8_35:                               ;   Parent Loop BB8_34 Depth=1
                                        ; =>  This Inner Loop Header: Depth=2
	global_load_b32 v7, v[8:9], off scope:SCOPE_DEV
	s_wait_loadcnt 0x0
	v_cmp_ne_u32_e32 vcc_lo, 0, v7
	s_or_b32 s15, vcc_lo, s15
	s_wait_xcnt 0x0
	s_and_not1_b32 exec_lo, exec_lo, s15
	s_cbranch_execnz .LBB8_35
; %bb.36:                               ;   in Loop: Header=BB8_34 Depth=1
	s_or_b32 exec_lo, exec_lo, s15
	v_subrev_nc_u32_e32 v7, s28, v17
	v_cmp_eq_u32_e32 vcc_lo, -1, v16
	global_inv scope:SCOPE_DEV
	s_mov_b32 s22, -1
	s_mov_b32 s15, exec_lo
	v_add_nc_u32_e32 v8, -1, v7
	s_delay_alu instid0(VALU_DEP_1)
	v_cndmask_b32_e32 v8, v16, v8, vcc_lo
	global_load_b32 v9, v8, s[8:9] scale_offset
	s_wait_loadcnt 0x0
	s_wait_xcnt 0x0
	v_cmpx_neq_f32_e32 0, v9
	s_cbranch_execz .LBB8_33
; %bb.37:                               ;   in Loop: Header=BB8_34 Depth=1
	v_div_scale_f32 v16, null, v9, v9, v15
	s_mov_b32 s22, exec_lo
	v_add_nc_u32_e32 v8, v14, v8
	v_rcp_f32_e32 v17, v16
	v_nop
	s_delay_alu instid0(TRANS32_DEP_1) | instskip(NEXT) | instid1(VALU_DEP_1)
	v_fma_f32 v18, -v16, v17, 1.0
	v_fmac_f32_e32 v17, v18, v17
	v_div_scale_f32 v18, vcc_lo, v15, v9, v15
	s_delay_alu instid0(VALU_DEP_1) | instskip(NEXT) | instid1(VALU_DEP_1)
	v_mul_f32_e32 v19, v18, v17
	v_fma_f32 v20, -v16, v19, v18
	s_delay_alu instid0(VALU_DEP_1) | instskip(NEXT) | instid1(VALU_DEP_1)
	v_fmac_f32_e32 v19, v20, v17
	v_fma_f32 v16, -v16, v19, v18
	s_delay_alu instid0(VALU_DEP_1) | instskip(NEXT) | instid1(VALU_DEP_1)
	v_div_fmas_f32 v16, v16, v17, v19
	v_div_fixup_f32 v15, v16, v9, v15
	global_store_b32 v[10:11], v15, off
	s_wait_xcnt 0x0
	v_cmpx_lt_i32_e64 v8, v7
	s_cbranch_execz .LBB8_32
; %bb.38:                               ;   in Loop: Header=BB8_34 Depth=1
	s_mov_b32 s23, 0
	s_branch .LBB8_40
.LBB8_39:                               ;   in Loop: Header=BB8_40 Depth=2
	s_wait_xcnt 0x0
	s_or_b32 exec_lo, exec_lo, s24
	v_add_nc_u32_e32 v8, 64, v8
	s_delay_alu instid0(VALU_DEP_1) | instskip(SKIP_1) | instid1(SALU_CYCLE_1)
	v_cmp_ge_i32_e32 vcc_lo, v8, v7
	s_or_b32 s23, vcc_lo, s23
	s_and_not1_b32 exec_lo, exec_lo, s23
	s_cbranch_execz .LBB8_32
.LBB8_40:                               ;   Parent Loop BB8_34 Depth=1
                                        ; =>  This Loop Header: Depth=2
                                        ;       Child Loop BB8_49 Depth 3
	global_load_b32 v10, v8, s[6:7] scale_offset
	v_ashrrev_i32_e32 v9, 31, v8
	v_mov_b32_e32 v11, 0x80
	s_mov_b32 s24, 0
                                        ; implicit-def: $sgpr25
                                        ; implicit-def: $sgpr26
                                        ; implicit-def: $sgpr27
	s_wait_loadcnt 0x0
	v_mul_lo_u32 v17, 0x67, v10
	s_branch .LBB8_49
.LBB8_41:                               ;   in Loop: Header=BB8_49 Depth=3
	s_or_b32 exec_lo, exec_lo, s41
	s_delay_alu instid0(SALU_CYCLE_1)
	s_or_not1_b32 s39, s39, exec_lo
	s_or_not1_b32 s40, s40, exec_lo
.LBB8_42:                               ;   in Loop: Header=BB8_49 Depth=3
	s_or_b32 exec_lo, exec_lo, s38
	s_delay_alu instid0(SALU_CYCLE_1)
	s_and_b32 s39, s39, exec_lo
	s_or_not1_b32 s38, s40, exec_lo
.LBB8_43:                               ;   in Loop: Header=BB8_49 Depth=3
	s_or_b32 exec_lo, exec_lo, s37
	s_delay_alu instid0(SALU_CYCLE_1)
	s_or_not1_b32 s37, s39, exec_lo
	s_or_not1_b32 s38, s38, exec_lo
.LBB8_44:                               ;   in Loop: Header=BB8_49 Depth=3
	s_or_b32 exec_lo, exec_lo, s36
	s_delay_alu instid0(SALU_CYCLE_1)
	s_and_b32 s37, s37, exec_lo
	s_or_not1_b32 s36, s38, exec_lo
.LBB8_45:                               ;   in Loop: Header=BB8_49 Depth=3
	s_or_b32 exec_lo, exec_lo, s35
	s_delay_alu instid0(SALU_CYCLE_1)
	s_or_not1_b32 s35, s37, exec_lo
	s_or_not1_b32 s36, s36, exec_lo
.LBB8_46:                               ;   in Loop: Header=BB8_49 Depth=3
	s_or_b32 exec_lo, exec_lo, s34
	s_delay_alu instid0(SALU_CYCLE_1)
	s_and_b32 s35, s35, exec_lo
	s_or_not1_b32 s34, s36, exec_lo
.LBB8_47:                               ;   in Loop: Header=BB8_49 Depth=3
	s_or_b32 exec_lo, exec_lo, s33
	s_delay_alu instid0(SALU_CYCLE_1)
	s_and_not1_b32 s27, s27, exec_lo
	s_and_b32 s33, s35, exec_lo
	s_and_not1_b32 s26, s26, exec_lo
	s_and_b32 s34, s34, exec_lo
	s_or_b32 s27, s27, s33
	s_or_b32 s26, s26, s34
.LBB8_48:                               ;   in Loop: Header=BB8_49 Depth=3
	s_or_b32 exec_lo, exec_lo, s31
	s_delay_alu instid0(SALU_CYCLE_1) | instskip(NEXT) | instid1(SALU_CYCLE_1)
	s_and_b32 s31, exec_lo, s26
	s_or_b32 s24, s31, s24
	s_and_not1_b32 s25, s25, exec_lo
	s_and_b32 s31, s27, exec_lo
	s_delay_alu instid0(SALU_CYCLE_1)
	s_or_b32 s25, s25, s31
	s_and_not1_b32 exec_lo, exec_lo, s24
	s_cbranch_execz .LBB8_58
.LBB8_49:                               ;   Parent Loop BB8_34 Depth=1
                                        ;     Parent Loop BB8_40 Depth=2
                                        ; =>    This Inner Loop Header: Depth=3
	s_delay_alu instid0(VALU_DEP_1) | instskip(SKIP_3) | instid1(VALU_DEP_1)
	v_and_b32_e32 v16, 0x7f, v17
	s_or_b32 s27, s27, exec_lo
	s_or_b32 s26, s26, exec_lo
	s_mov_b32 s31, exec_lo
	v_lshl_add_u32 v18, v16, 2, v5
	ds_load_b32 v18, v18
	s_wait_dscnt 0x0
	s_wait_xcnt 0x0
	v_cmpx_ne_u32_e32 -1, v18
	s_cbranch_execz .LBB8_48
; %bb.50:                               ;   in Loop: Header=BB8_49 Depth=3
	s_mov_b32 s34, -1
	s_mov_b32 s35, 0
	s_mov_b32 s33, exec_lo
	v_cmpx_ne_u32_e64 v18, v10
	s_cbranch_execz .LBB8_47
; %bb.51:                               ;   in Loop: Header=BB8_49 Depth=3
	v_add_nc_u32_e32 v16, 1, v17
	s_mov_b32 s36, -1
	s_mov_b32 s35, -1
	s_mov_b32 s34, exec_lo
	s_delay_alu instid0(VALU_DEP_1) | instskip(NEXT) | instid1(VALU_DEP_1)
	v_and_b32_e32 v16, 0x7f, v16
	v_lshl_add_u32 v18, v16, 2, v5
	ds_load_b32 v18, v18
	s_wait_dscnt 0x0
	v_cmpx_ne_u32_e32 -1, v18
	s_cbranch_execz .LBB8_46
; %bb.52:                               ;   in Loop: Header=BB8_49 Depth=3
	s_mov_b32 s37, 0
	s_mov_b32 s35, exec_lo
	v_cmpx_ne_u32_e64 v18, v10
	s_cbranch_execz .LBB8_45
; %bb.53:                               ;   in Loop: Header=BB8_49 Depth=3
	v_add_nc_u32_e32 v16, 2, v17
	s_mov_b32 s38, -1
	s_mov_b32 s37, -1
	s_mov_b32 s36, exec_lo
	s_delay_alu instid0(VALU_DEP_1) | instskip(NEXT) | instid1(VALU_DEP_1)
	v_and_b32_e32 v16, 0x7f, v16
	v_lshl_add_u32 v18, v16, 2, v5
	ds_load_b32 v18, v18
	s_wait_dscnt 0x0
	v_cmpx_ne_u32_e32 -1, v18
	s_cbranch_execz .LBB8_44
; %bb.54:                               ;   in Loop: Header=BB8_49 Depth=3
	s_mov_b32 s39, 0
	s_mov_b32 s37, exec_lo
	v_cmpx_ne_u32_e64 v18, v10
	s_cbranch_execz .LBB8_43
; %bb.55:                               ;   in Loop: Header=BB8_49 Depth=3
	v_add_nc_u32_e32 v16, 3, v17
	s_mov_b32 s40, -1
	s_mov_b32 s39, -1
	s_mov_b32 s38, exec_lo
	s_delay_alu instid0(VALU_DEP_1) | instskip(NEXT) | instid1(VALU_DEP_1)
	v_and_b32_e32 v16, 0x7f, v16
	v_lshl_add_u32 v17, v16, 2, v5
	ds_load_b32 v18, v17
                                        ; implicit-def: $vgpr17
	s_wait_dscnt 0x0
	v_cmpx_ne_u32_e32 -1, v18
	s_cbranch_execz .LBB8_42
; %bb.56:                               ;   in Loop: Header=BB8_49 Depth=3
	s_mov_b32 s39, 0
	s_mov_b32 s41, exec_lo
                                        ; implicit-def: $vgpr17
	v_cmpx_ne_u32_e64 v18, v10
	s_cbranch_execz .LBB8_41
; %bb.57:                               ;   in Loop: Header=BB8_49 Depth=3
	v_dual_add_nc_u32 v11, -4, v11 :: v_dual_add_nc_u32 v17, 1, v16
	s_mov_b32 s39, exec_lo
	s_delay_alu instid0(VALU_DEP_1)
	v_cmp_eq_u32_e32 vcc_lo, 0, v11
	s_or_not1_b32 s40, vcc_lo, exec_lo
	s_branch .LBB8_41
.LBB8_58:                               ;   in Loop: Header=BB8_40 Depth=2
	s_or_b32 exec_lo, exec_lo, s24
	s_xor_b32 s24, s25, -1
	s_delay_alu instid0(SALU_CYCLE_1) | instskip(NEXT) | instid1(SALU_CYCLE_1)
	s_and_saveexec_b32 s25, s24
	s_xor_b32 s24, exec_lo, s25
	s_cbranch_execz .LBB8_39
; %bb.59:                               ;   in Loop: Header=BB8_40 Depth=2
	v_lshl_add_u32 v10, v16, 2, v13
	ds_load_b32 v16, v10
	v_lshl_add_u64 v[10:11], v[8:9], 2, s[8:9]
	global_load_b32 v9, v[10:11], off
	s_wait_dscnt 0x0
	global_load_b32 v17, v16, s[8:9] scale_offset
	s_wait_loadcnt 0x0
	v_fma_f32 v9, -v15, v9, v17
	global_store_b32 v16, v9, s[8:9] scale_offset
	s_branch .LBB8_39
.LBB8_60:
	s_or_b32 exec_lo, exec_lo, s2
	s_mov_b32 s5, -1
	s_mov_b32 s4, exec_lo
	s_wait_storecnt 0x0
	v_cmpx_lt_i32_e32 -1, v4
	s_cbranch_execz .LBB8_76
; %bb.61:
	global_load_b32 v8, v4, s[8:9] scale_offset
	v_cmp_eq_u32_e64 s2, 0, v12
	s_wait_loadcnt 0x0
	v_cmp_gt_f32_e32 vcc_lo, 0, v8
	v_cndmask_b32_e64 v5, v8, -v8, vcc_lo
	s_and_not1_b32 vcc_lo, exec_lo, s29
	s_delay_alu instid0(VALU_DEP_1)
	v_cvt_f64_f32_e32 v[6:7], v5
	s_cbranch_vccnz .LBB8_65
; %bb.62:
	v_cvt_f64_f32_e32 v[10:11], s30
	s_cmp_eq_u64 s[20:21], 8
	s_cselect_b32 vcc_lo, -1, 0
	s_delay_alu instid0(VALU_DEP_1) | instskip(NEXT) | instid1(VALU_DEP_1)
	v_dual_cndmask_b32 v3, v11, v3 :: v_dual_cndmask_b32 v2, v10, v2
	v_cmp_ge_f64_e32 vcc_lo, v[2:3], v[6:7]
	s_and_b32 s6, s2, vcc_lo
	s_delay_alu instid0(SALU_CYCLE_1)
	s_and_saveexec_b32 s5, s6
	s_cbranch_execz .LBB8_64
; %bb.63:
	v_dual_mov_b32 v5, 0 :: v_dual_mov_b32 v9, s3
	s_delay_alu instid0(VALU_DEP_1)
	v_lshl_add_u64 v[2:3], v[4:5], 2, s[8:9]
	global_store_b32 v[2:3], v9, off
	global_wb scope:SCOPE_DEV
	s_wait_storecnt 0x0
	global_inv scope:SCOPE_DEV
.LBB8_64:
	s_wait_xcnt 0x0
	s_or_b32 exec_lo, exec_lo, s5
	s_mov_b32 s5, 0
.LBB8_65:
	s_delay_alu instid0(SALU_CYCLE_1)
	s_and_not1_b32 vcc_lo, exec_lo, s5
	s_cbranch_vccnz .LBB8_76
; %bb.66:
	s_load_b64 s[0:1], s[0:1], 0x48
	v_add_nc_u32_e32 v2, s28, v0
	s_wait_kmcnt 0x0
	s_delay_alu instid0(VALU_DEP_2) | instskip(SKIP_1) | instid1(SALU_CYCLE_1)
	v_cmp_ge_f64_e32 vcc_lo, s[0:1], v[6:7]
	s_and_b32 s1, s2, vcc_lo
	s_and_saveexec_b32 s0, s1
	s_cbranch_execz .LBB8_71
; %bb.67:
	s_mov_b32 s3, exec_lo
	s_brev_b32 s1, -2
.LBB8_68:                               ; =>This Inner Loop Header: Depth=1
	s_ctz_i32_b32 s5, s3
	s_delay_alu instid0(SALU_CYCLE_1) | instskip(SKIP_1) | instid1(SALU_CYCLE_1)
	v_readlane_b32 s6, v2, s5
	s_lshl_b32 s5, 1, s5
	s_and_not1_b32 s3, s3, s5
	s_min_i32 s1, s1, s6
	s_cmp_lg_u32 s3, 0
	s_cbranch_scc1 .LBB8_68
; %bb.69:
	v_mbcnt_lo_u32_b32 v3, exec_lo, 0
	s_mov_b32 s3, exec_lo
	s_delay_alu instid0(VALU_DEP_1)
	v_cmpx_eq_u32_e32 0, v3
	s_xor_b32 s3, exec_lo, s3
	s_cbranch_execz .LBB8_71
; %bb.70:
	v_dual_mov_b32 v3, 0 :: v_dual_mov_b32 v4, s1
	global_atomic_min_i32 v3, v4, s[18:19] scope:SCOPE_DEV
.LBB8_71:
	s_wait_xcnt 0x0
	s_or_b32 exec_lo, exec_lo, s0
	v_cmp_eq_f32_e32 vcc_lo, 0, v8
	s_and_b32 s0, s2, vcc_lo
	s_delay_alu instid0(SALU_CYCLE_1)
	s_and_b32 exec_lo, exec_lo, s0
	s_cbranch_execz .LBB8_76
; %bb.72:
	s_mov_b32 s1, exec_lo
	s_brev_b32 s0, -2
.LBB8_73:                               ; =>This Inner Loop Header: Depth=1
	s_ctz_i32_b32 s2, s1
	s_delay_alu instid0(SALU_CYCLE_1) | instskip(SKIP_1) | instid1(SALU_CYCLE_1)
	v_readlane_b32 s3, v2, s2
	s_lshl_b32 s2, 1, s2
	s_and_not1_b32 s1, s1, s2
	s_min_i32 s0, s0, s3
	s_cmp_lg_u32 s1, 0
	s_cbranch_scc1 .LBB8_73
; %bb.74:
	v_mbcnt_lo_u32_b32 v2, exec_lo, 0
	s_mov_b32 s1, exec_lo
	s_delay_alu instid0(VALU_DEP_1)
	v_cmpx_eq_u32_e32 0, v2
	s_xor_b32 s1, exec_lo, s1
	s_cbranch_execz .LBB8_76
; %bb.75:
	v_dual_mov_b32 v2, 0 :: v_dual_mov_b32 v3, s0
	global_atomic_min_i32 v2, v3, s[16:17] scope:SCOPE_DEV
.LBB8_76:
	s_wait_xcnt 0x0
	s_or_b32 exec_lo, exec_lo, s4
	v_cmp_eq_u32_e32 vcc_lo, 0, v12
	global_wb scope:SCOPE_DEV
	s_wait_loadcnt 0x0
	s_wait_storecnt 0x0
	global_inv scope:SCOPE_DEV
	s_and_b32 exec_lo, exec_lo, vcc_lo
	s_cbranch_execz .LBB8_78
; %bb.77:
	v_lshl_add_u64 v[0:1], v[0:1], 2, s[12:13]
	v_mov_b32_e32 v2, 1
	global_wb scope:SCOPE_DEV
	s_wait_loadcnt 0x0
	s_wait_storecnt 0x0
	global_store_b32 v[0:1], v2, off scope:SCOPE_DEV
.LBB8_78:
	s_endpgm
	.section	.rodata,"a",@progbits
	.p2align	6, 0x0
	.amdhsa_kernel _ZN9rocsparseL12csrilu0_hashILj256ELj64ELj2EfEEviPKiS2_PT2_S2_PiS2_S5_S5_d21rocsparse_index_base_imNS_24const_host_device_scalarIfEENS7_IdEENS7_IS3_EEb
		.amdhsa_group_segment_fixed_size 4096
		.amdhsa_private_segment_fixed_size 0
		.amdhsa_kernarg_size 124
		.amdhsa_user_sgpr_count 2
		.amdhsa_user_sgpr_dispatch_ptr 0
		.amdhsa_user_sgpr_queue_ptr 0
		.amdhsa_user_sgpr_kernarg_segment_ptr 1
		.amdhsa_user_sgpr_dispatch_id 0
		.amdhsa_user_sgpr_kernarg_preload_length 0
		.amdhsa_user_sgpr_kernarg_preload_offset 0
		.amdhsa_user_sgpr_private_segment_size 0
		.amdhsa_wavefront_size32 1
		.amdhsa_uses_dynamic_stack 0
		.amdhsa_enable_private_segment 0
		.amdhsa_system_sgpr_workgroup_id_x 1
		.amdhsa_system_sgpr_workgroup_id_y 0
		.amdhsa_system_sgpr_workgroup_id_z 0
		.amdhsa_system_sgpr_workgroup_info 0
		.amdhsa_system_vgpr_workitem_id 0
		.amdhsa_next_free_vgpr 21
		.amdhsa_next_free_sgpr 42
		.amdhsa_named_barrier_count 0
		.amdhsa_reserve_vcc 1
		.amdhsa_float_round_mode_32 0
		.amdhsa_float_round_mode_16_64 0
		.amdhsa_float_denorm_mode_32 3
		.amdhsa_float_denorm_mode_16_64 3
		.amdhsa_fp16_overflow 0
		.amdhsa_memory_ordered 1
		.amdhsa_forward_progress 1
		.amdhsa_inst_pref_size 22
		.amdhsa_round_robin_scheduling 0
		.amdhsa_exception_fp_ieee_invalid_op 0
		.amdhsa_exception_fp_denorm_src 0
		.amdhsa_exception_fp_ieee_div_zero 0
		.amdhsa_exception_fp_ieee_overflow 0
		.amdhsa_exception_fp_ieee_underflow 0
		.amdhsa_exception_fp_ieee_inexact 0
		.amdhsa_exception_int_div_zero 0
	.end_amdhsa_kernel
	.section	.text._ZN9rocsparseL12csrilu0_hashILj256ELj64ELj2EfEEviPKiS2_PT2_S2_PiS2_S5_S5_d21rocsparse_index_base_imNS_24const_host_device_scalarIfEENS7_IdEENS7_IS3_EEb,"axG",@progbits,_ZN9rocsparseL12csrilu0_hashILj256ELj64ELj2EfEEviPKiS2_PT2_S2_PiS2_S5_S5_d21rocsparse_index_base_imNS_24const_host_device_scalarIfEENS7_IdEENS7_IS3_EEb,comdat
.Lfunc_end8:
	.size	_ZN9rocsparseL12csrilu0_hashILj256ELj64ELj2EfEEviPKiS2_PT2_S2_PiS2_S5_S5_d21rocsparse_index_base_imNS_24const_host_device_scalarIfEENS7_IdEENS7_IS3_EEb, .Lfunc_end8-_ZN9rocsparseL12csrilu0_hashILj256ELj64ELj2EfEEviPKiS2_PT2_S2_PiS2_S5_S5_d21rocsparse_index_base_imNS_24const_host_device_scalarIfEENS7_IdEENS7_IS3_EEb
                                        ; -- End function
	.set _ZN9rocsparseL12csrilu0_hashILj256ELj64ELj2EfEEviPKiS2_PT2_S2_PiS2_S5_S5_d21rocsparse_index_base_imNS_24const_host_device_scalarIfEENS7_IdEENS7_IS3_EEb.num_vgpr, 21
	.set _ZN9rocsparseL12csrilu0_hashILj256ELj64ELj2EfEEviPKiS2_PT2_S2_PiS2_S5_S5_d21rocsparse_index_base_imNS_24const_host_device_scalarIfEENS7_IdEENS7_IS3_EEb.num_agpr, 0
	.set _ZN9rocsparseL12csrilu0_hashILj256ELj64ELj2EfEEviPKiS2_PT2_S2_PiS2_S5_S5_d21rocsparse_index_base_imNS_24const_host_device_scalarIfEENS7_IdEENS7_IS3_EEb.numbered_sgpr, 42
	.set _ZN9rocsparseL12csrilu0_hashILj256ELj64ELj2EfEEviPKiS2_PT2_S2_PiS2_S5_S5_d21rocsparse_index_base_imNS_24const_host_device_scalarIfEENS7_IdEENS7_IS3_EEb.num_named_barrier, 0
	.set _ZN9rocsparseL12csrilu0_hashILj256ELj64ELj2EfEEviPKiS2_PT2_S2_PiS2_S5_S5_d21rocsparse_index_base_imNS_24const_host_device_scalarIfEENS7_IdEENS7_IS3_EEb.private_seg_size, 0
	.set _ZN9rocsparseL12csrilu0_hashILj256ELj64ELj2EfEEviPKiS2_PT2_S2_PiS2_S5_S5_d21rocsparse_index_base_imNS_24const_host_device_scalarIfEENS7_IdEENS7_IS3_EEb.uses_vcc, 1
	.set _ZN9rocsparseL12csrilu0_hashILj256ELj64ELj2EfEEviPKiS2_PT2_S2_PiS2_S5_S5_d21rocsparse_index_base_imNS_24const_host_device_scalarIfEENS7_IdEENS7_IS3_EEb.uses_flat_scratch, 0
	.set _ZN9rocsparseL12csrilu0_hashILj256ELj64ELj2EfEEviPKiS2_PT2_S2_PiS2_S5_S5_d21rocsparse_index_base_imNS_24const_host_device_scalarIfEENS7_IdEENS7_IS3_EEb.has_dyn_sized_stack, 0
	.set _ZN9rocsparseL12csrilu0_hashILj256ELj64ELj2EfEEviPKiS2_PT2_S2_PiS2_S5_S5_d21rocsparse_index_base_imNS_24const_host_device_scalarIfEENS7_IdEENS7_IS3_EEb.has_recursion, 0
	.set _ZN9rocsparseL12csrilu0_hashILj256ELj64ELj2EfEEviPKiS2_PT2_S2_PiS2_S5_S5_d21rocsparse_index_base_imNS_24const_host_device_scalarIfEENS7_IdEENS7_IS3_EEb.has_indirect_call, 0
	.section	.AMDGPU.csdata,"",@progbits
; Kernel info:
; codeLenInByte = 2800
; TotalNumSgprs: 44
; NumVgprs: 21
; ScratchSize: 0
; MemoryBound: 0
; FloatMode: 240
; IeeeMode: 1
; LDSByteSize: 4096 bytes/workgroup (compile time only)
; SGPRBlocks: 0
; VGPRBlocks: 1
; NumSGPRsForWavesPerEU: 44
; NumVGPRsForWavesPerEU: 21
; NamedBarCnt: 0
; Occupancy: 16
; WaveLimiterHint : 1
; COMPUTE_PGM_RSRC2:SCRATCH_EN: 0
; COMPUTE_PGM_RSRC2:USER_SGPR: 2
; COMPUTE_PGM_RSRC2:TRAP_HANDLER: 0
; COMPUTE_PGM_RSRC2:TGID_X_EN: 1
; COMPUTE_PGM_RSRC2:TGID_Y_EN: 0
; COMPUTE_PGM_RSRC2:TGID_Z_EN: 0
; COMPUTE_PGM_RSRC2:TIDIG_COMP_CNT: 0
	.section	.text._ZN9rocsparseL12csrilu0_hashILj256ELj64ELj4EfEEviPKiS2_PT2_S2_PiS2_S5_S5_d21rocsparse_index_base_imNS_24const_host_device_scalarIfEENS7_IdEENS7_IS3_EEb,"axG",@progbits,_ZN9rocsparseL12csrilu0_hashILj256ELj64ELj4EfEEviPKiS2_PT2_S2_PiS2_S5_S5_d21rocsparse_index_base_imNS_24const_host_device_scalarIfEENS7_IdEENS7_IS3_EEb,comdat
	.globl	_ZN9rocsparseL12csrilu0_hashILj256ELj64ELj4EfEEviPKiS2_PT2_S2_PiS2_S5_S5_d21rocsparse_index_base_imNS_24const_host_device_scalarIfEENS7_IdEENS7_IS3_EEb ; -- Begin function _ZN9rocsparseL12csrilu0_hashILj256ELj64ELj4EfEEviPKiS2_PT2_S2_PiS2_S5_S5_d21rocsparse_index_base_imNS_24const_host_device_scalarIfEENS7_IdEENS7_IS3_EEb
	.p2align	8
	.type	_ZN9rocsparseL12csrilu0_hashILj256ELj64ELj4EfEEviPKiS2_PT2_S2_PiS2_S5_S5_d21rocsparse_index_base_imNS_24const_host_device_scalarIfEENS7_IdEENS7_IS3_EEb,@function
_ZN9rocsparseL12csrilu0_hashILj256ELj64ELj4EfEEviPKiS2_PT2_S2_PiS2_S5_S5_d21rocsparse_index_base_imNS_24const_host_device_scalarIfEENS7_IdEENS7_IS3_EEb: ; @_ZN9rocsparseL12csrilu0_hashILj256ELj64ELj4EfEEviPKiS2_PT2_S2_PiS2_S5_S5_d21rocsparse_index_base_imNS_24const_host_device_scalarIfEENS7_IdEENS7_IS3_EEb
; %bb.0:
	s_clause 0x2
	s_load_b32 s2, s[0:1], 0x78
	s_load_b64 s[28:29], s[0:1], 0x50
	s_load_b256 s[20:27], s[0:1], 0x58
	s_wait_kmcnt 0x0
	s_bitcmp1_b32 s2, 0
	s_cselect_b32 s2, -1, 0
	s_cmp_eq_u32 s29, 0
	s_cselect_b32 s4, -1, 0
	s_cmp_lg_u32 s29, 0
	s_cselect_b32 s29, -1, 0
	s_or_b32 s6, s4, s2
	s_delay_alu instid0(SALU_CYCLE_1)
	s_xor_b32 s5, s6, -1
	s_and_b32 s2, s4, exec_lo
	s_cselect_b32 s3, 0, s25
	s_cselect_b32 s2, 0, s24
	;; [unrolled: 1-line block ×3, first 2 shown]
	s_and_b32 vcc_lo, exec_lo, s6
	s_cbranch_vccnz .LBB9_2
; %bb.1:
	s_load_b32 s30, s[22:23], 0x0
	s_mov_b64 s[2:3], s[24:25]
.LBB9_2:
	s_delay_alu instid0(SALU_CYCLE_1)
	v_mov_b64_e32 v[2:3], s[2:3]
	v_cndmask_b32_e64 v1, 0, 1, s5
	s_and_not1_b32 vcc_lo, exec_lo, s5
	s_cbranch_vccnz .LBB9_4
; %bb.3:
	v_mov_b32_e32 v2, 0
	flat_load_b64 v[2:3], v2, s[24:25]
.LBB9_4:
	s_delay_alu instid0(VALU_DEP_1)
	v_cmp_ne_u32_e32 vcc_lo, 1, v1
	s_and_b32 s2, s4, exec_lo
	s_cselect_b32 s3, 0, s26
	s_cbranch_vccnz .LBB9_6
; %bb.5:
	s_load_b32 s3, s[26:27], 0x0
.LBB9_6:
	s_load_b32 s2, s[0:1], 0x0
	s_bfe_u32 s4, ttmp6, 0x4000c
	v_dual_lshlrev_b32 v1, 2, v0 :: v_dual_bitop2_b32 v12, 63, v0 bitop3:0x40
	s_add_co_i32 s4, s4, 1
	s_and_b32 s5, ttmp6, 15
	s_mul_i32 s4, ttmp9, s4
	s_getreg_b32 s6, hwreg(HW_REG_IB_STS2, 6, 4)
	s_add_co_i32 s5, s5, s4
	s_cmp_eq_u32 s6, 0
	v_and_b32_e32 v9, 0x300, v1
	v_dual_lshrrev_b32 v0, 6, v0 :: v_dual_mov_b32 v4, -1
	s_cselect_b32 s4, ttmp9, s5
	s_delay_alu instid0(SALU_CYCLE_1) | instskip(NEXT) | instid1(VALU_DEP_2)
	s_lshl_b32 s4, s4, 2
	v_lshl_or_b32 v5, v9, 2, 0x1000
	s_delay_alu instid0(VALU_DEP_2) | instskip(NEXT) | instid1(VALU_DEP_2)
	v_and_or_b32 v0, 0x3fffffc, s4, v0
	v_lshl_or_b32 v1, v12, 2, v5
	s_wait_kmcnt 0x0
	s_delay_alu instid0(VALU_DEP_2)
	v_cmp_gt_i32_e32 vcc_lo, s2, v0
	ds_store_2addr_stride64_b32 v1, v4, v4 offset1:1
	ds_store_2addr_stride64_b32 v1, v4, v4 offset0:2 offset1:3
	s_wait_loadcnt_dscnt 0x0
	s_and_saveexec_b32 s2, vcc_lo
	s_cbranch_execz .LBB9_78
; %bb.7:
	s_load_b512 s[4:19], s[0:1], 0x8
	s_mov_b32 s2, exec_lo
	v_lshlrev_b32_e32 v13, 2, v9
	s_wait_kmcnt 0x0
	global_load_b32 v0, v0, s[14:15] scale_offset
	s_wait_loadcnt 0x0
	v_ashrrev_i32_e32 v1, 31, v0
	s_delay_alu instid0(VALU_DEP_1)
	v_lshl_add_u64 v[6:7], v[0:1], 2, s[4:5]
	global_load_b64 v[10:11], v[6:7], off
	global_load_b32 v4, v0, s[10:11] scale_offset
	s_wait_loadcnt 0x1
	s_wait_xcnt 0x1
	v_subrev_nc_u32_e32 v6, s28, v10
	v_subrev_nc_u32_e32 v7, s28, v11
	s_delay_alu instid0(VALU_DEP_2) | instskip(SKIP_1) | instid1(VALU_DEP_1)
	v_add_nc_u32_e32 v8, v6, v12
	s_wait_xcnt 0x0
	v_cmpx_lt_i32_e64 v8, v7
	s_cbranch_execz .LBB9_30
; %bb.8:
	v_mov_b32_e32 v9, -1
	s_mov_b32 s14, 0
	s_branch .LBB9_10
.LBB9_9:                                ;   in Loop: Header=BB9_10 Depth=1
	s_or_b32 exec_lo, exec_lo, s15
	v_add_nc_u32_e32 v8, 64, v8
	s_delay_alu instid0(VALU_DEP_1) | instskip(SKIP_1) | instid1(SALU_CYCLE_1)
	v_cmp_ge_i32_e32 vcc_lo, v8, v7
	s_or_b32 s14, vcc_lo, s14
	s_and_not1_b32 exec_lo, exec_lo, s14
	s_cbranch_execz .LBB9_30
.LBB9_10:                               ; =>This Loop Header: Depth=1
                                        ;     Child Loop BB9_19 Depth 2
	global_load_b32 v10, v8, s[6:7] scale_offset
	v_mov_b32_e32 v11, 0x100
	s_mov_b32 s15, 0
                                        ; implicit-def: $sgpr22
                                        ; implicit-def: $sgpr23
                                        ; implicit-def: $sgpr24
	s_wait_loadcnt 0x0
	v_mul_lo_u32 v15, 0x67, v10
	s_branch .LBB9_19
.LBB9_11:                               ;   in Loop: Header=BB9_19 Depth=2
	s_or_b32 exec_lo, exec_lo, s38
	s_delay_alu instid0(SALU_CYCLE_1)
	s_or_not1_b32 s36, s36, exec_lo
	s_or_not1_b32 s37, s37, exec_lo
.LBB9_12:                               ;   in Loop: Header=BB9_19 Depth=2
	s_or_b32 exec_lo, exec_lo, s35
	s_delay_alu instid0(SALU_CYCLE_1)
	s_and_b32 s36, s36, exec_lo
	s_or_not1_b32 s35, s37, exec_lo
.LBB9_13:                               ;   in Loop: Header=BB9_19 Depth=2
	s_or_b32 exec_lo, exec_lo, s34
	s_delay_alu instid0(SALU_CYCLE_1)
	s_or_not1_b32 s34, s36, exec_lo
	s_or_not1_b32 s35, s35, exec_lo
.LBB9_14:                               ;   in Loop: Header=BB9_19 Depth=2
	s_or_b32 exec_lo, exec_lo, s33
	s_delay_alu instid0(SALU_CYCLE_1)
	s_and_b32 s34, s34, exec_lo
	s_or_not1_b32 s33, s35, exec_lo
.LBB9_15:                               ;   in Loop: Header=BB9_19 Depth=2
	s_or_b32 exec_lo, exec_lo, s31
	s_delay_alu instid0(SALU_CYCLE_1)
	s_or_not1_b32 s31, s34, exec_lo
	s_or_not1_b32 s33, s33, exec_lo
.LBB9_16:                               ;   in Loop: Header=BB9_19 Depth=2
	s_or_b32 exec_lo, exec_lo, s27
	s_delay_alu instid0(SALU_CYCLE_1)
	s_and_b32 s31, s31, exec_lo
	s_or_not1_b32 s27, s33, exec_lo
.LBB9_17:                               ;   in Loop: Header=BB9_19 Depth=2
	s_or_b32 exec_lo, exec_lo, s26
	s_delay_alu instid0(SALU_CYCLE_1)
	s_and_not1_b32 s24, s24, exec_lo
	s_and_b32 s26, s31, exec_lo
	s_and_not1_b32 s23, s23, exec_lo
	s_and_b32 s27, s27, exec_lo
	s_or_b32 s24, s24, s26
	s_or_b32 s23, s23, s27
.LBB9_18:                               ;   in Loop: Header=BB9_19 Depth=2
	s_or_b32 exec_lo, exec_lo, s25
	s_delay_alu instid0(SALU_CYCLE_1) | instskip(NEXT) | instid1(SALU_CYCLE_1)
	s_and_b32 s25, exec_lo, s23
	s_or_b32 s15, s25, s15
	s_and_not1_b32 s22, s22, exec_lo
	s_and_b32 s25, s24, exec_lo
	s_delay_alu instid0(SALU_CYCLE_1)
	s_or_b32 s22, s22, s25
	s_and_not1_b32 exec_lo, exec_lo, s15
	s_cbranch_execz .LBB9_28
.LBB9_19:                               ;   Parent Loop BB9_10 Depth=1
                                        ; =>  This Inner Loop Header: Depth=2
	s_delay_alu instid0(VALU_DEP_1) | instskip(SKIP_3) | instid1(VALU_DEP_1)
	v_and_b32_e32 v14, 0xff, v15
	s_or_b32 s24, s24, exec_lo
	s_or_b32 s23, s23, exec_lo
	s_mov_b32 s25, exec_lo
	v_lshl_add_u32 v16, v14, 2, v5
	ds_load_b32 v17, v16
	s_wait_dscnt 0x0
	s_wait_xcnt 0x0
	v_cmpx_ne_u32_e64 v17, v10
	s_cbranch_execz .LBB9_18
; %bb.20:                               ;   in Loop: Header=BB9_19 Depth=2
	ds_cmpstore_rtn_b32 v16, v16, v10, v9
	s_mov_b32 s27, -1
	s_mov_b32 s31, 0
	s_mov_b32 s26, exec_lo
	s_wait_dscnt 0x0
	v_cmpx_ne_u32_e32 -1, v16
	s_cbranch_execz .LBB9_17
; %bb.21:                               ;   in Loop: Header=BB9_19 Depth=2
	v_add_nc_u32_e32 v14, 1, v15
	s_mov_b32 s33, -1
	s_mov_b32 s31, -1
	s_mov_b32 s27, exec_lo
	s_delay_alu instid0(VALU_DEP_1) | instskip(NEXT) | instid1(VALU_DEP_1)
	v_and_b32_e32 v14, 0xff, v14
	v_lshl_add_u32 v16, v14, 2, v5
	ds_load_b32 v17, v16
	s_wait_dscnt 0x0
	v_cmpx_ne_u32_e64 v17, v10
	s_cbranch_execz .LBB9_16
; %bb.22:                               ;   in Loop: Header=BB9_19 Depth=2
	ds_cmpstore_rtn_b32 v16, v16, v10, v9
	s_mov_b32 s34, 0
	s_mov_b32 s31, exec_lo
	s_wait_dscnt 0x0
	v_cmpx_ne_u32_e32 -1, v16
	s_cbranch_execz .LBB9_15
; %bb.23:                               ;   in Loop: Header=BB9_19 Depth=2
	v_add_nc_u32_e32 v14, 2, v15
	s_mov_b32 s35, -1
	s_mov_b32 s34, -1
	s_mov_b32 s33, exec_lo
	s_delay_alu instid0(VALU_DEP_1) | instskip(NEXT) | instid1(VALU_DEP_1)
	v_and_b32_e32 v14, 0xff, v14
	v_lshl_add_u32 v16, v14, 2, v5
	ds_load_b32 v17, v16
	s_wait_dscnt 0x0
	v_cmpx_ne_u32_e64 v17, v10
	s_cbranch_execz .LBB9_14
; %bb.24:                               ;   in Loop: Header=BB9_19 Depth=2
	ds_cmpstore_rtn_b32 v16, v16, v10, v9
	s_mov_b32 s36, 0
	s_mov_b32 s34, exec_lo
	s_wait_dscnt 0x0
	v_cmpx_ne_u32_e32 -1, v16
	s_cbranch_execz .LBB9_13
; %bb.25:                               ;   in Loop: Header=BB9_19 Depth=2
	v_add_nc_u32_e32 v14, 3, v15
	s_mov_b32 s37, -1
	s_mov_b32 s36, -1
	s_delay_alu instid0(VALU_DEP_1) | instskip(NEXT) | instid1(VALU_DEP_1)
	v_and_b32_e32 v14, 0xff, v14
	v_lshl_add_u32 v16, v14, 2, v5
	ds_load_b32 v15, v16
	s_wait_dscnt 0x0
	v_cmp_ne_u32_e32 vcc_lo, v15, v10
                                        ; implicit-def: $vgpr15
	s_and_saveexec_b32 s35, vcc_lo
	s_cbranch_execz .LBB9_12
; %bb.26:                               ;   in Loop: Header=BB9_19 Depth=2
	ds_cmpstore_rtn_b32 v15, v16, v10, v9
	s_mov_b32 s36, 0
	s_wait_dscnt 0x0
	v_cmp_ne_u32_e32 vcc_lo, -1, v15
                                        ; implicit-def: $vgpr15
	s_and_saveexec_b32 s38, vcc_lo
	s_cbranch_execz .LBB9_11
; %bb.27:                               ;   in Loop: Header=BB9_19 Depth=2
	v_dual_add_nc_u32 v11, -4, v11 :: v_dual_add_nc_u32 v15, 1, v14
	s_mov_b32 s36, exec_lo
	s_delay_alu instid0(VALU_DEP_1)
	v_cmp_eq_u32_e32 vcc_lo, 0, v11
	s_or_not1_b32 s37, vcc_lo, exec_lo
	s_branch .LBB9_11
.LBB9_28:                               ;   in Loop: Header=BB9_10 Depth=1
	s_or_b32 exec_lo, exec_lo, s15
	s_xor_b32 s15, s22, -1
	s_delay_alu instid0(SALU_CYCLE_1) | instskip(NEXT) | instid1(SALU_CYCLE_1)
	s_and_saveexec_b32 s22, s15
	s_xor_b32 s15, exec_lo, s22
	s_cbranch_execz .LBB9_9
; %bb.29:                               ;   in Loop: Header=BB9_10 Depth=1
	v_lshl_add_u32 v10, v14, 2, v13
	ds_store_b32 v10, v8
	s_branch .LBB9_9
.LBB9_30:
	s_or_b32 exec_lo, exec_lo, s2
	s_delay_alu instid0(SALU_CYCLE_1)
	s_mov_b32 s2, exec_lo
	s_wait_loadcnt_dscnt 0x0
	v_cmpx_lt_i32_e64 v6, v4
	s_cbranch_execz .LBB9_60
; %bb.31:
	v_add_nc_u32_e32 v14, 1, v12
	s_mov_b32 s14, 0
	s_branch .LBB9_34
.LBB9_32:                               ;   in Loop: Header=BB9_34 Depth=1
	s_or_b32 exec_lo, exec_lo, s22
	v_add_nc_u32_e32 v6, 1, v6
	s_delay_alu instid0(VALU_DEP_1)
	v_cmp_ge_i32_e32 vcc_lo, v6, v4
	s_or_not1_b32 s22, vcc_lo, exec_lo
.LBB9_33:                               ;   in Loop: Header=BB9_34 Depth=1
	s_or_b32 exec_lo, exec_lo, s15
	s_delay_alu instid0(SALU_CYCLE_1) | instskip(NEXT) | instid1(SALU_CYCLE_1)
	s_and_b32 s15, exec_lo, s22
	s_or_b32 s14, s15, s14
	s_delay_alu instid0(SALU_CYCLE_1)
	s_and_not1_b32 exec_lo, exec_lo, s14
	s_cbranch_execz .LBB9_60
.LBB9_34:                               ; =>This Loop Header: Depth=1
                                        ;     Child Loop BB9_35 Depth 2
                                        ;     Child Loop BB9_40 Depth 2
                                        ;       Child Loop BB9_49 Depth 3
	s_clause 0x1
	global_load_b32 v7, v6, s[6:7] scale_offset
	global_load_b32 v15, v6, s[8:9] scale_offset
	s_mov_b32 s15, 0
	s_wait_loadcnt 0x1
	v_subrev_nc_u32_e32 v8, s28, v7
	v_ashrrev_i32_e32 v7, 31, v6
	s_clause 0x1
	global_load_b32 v17, v8, s[4:5] offset:4 scale_offset
	global_load_b32 v16, v8, s[10:11] scale_offset
	v_ashrrev_i32_e32 v9, 31, v8
	v_lshl_add_u64 v[10:11], v[6:7], 2, s[8:9]
	s_wait_xcnt 0x0
	s_delay_alu instid0(VALU_DEP_2)
	v_lshl_add_u64 v[8:9], v[8:9], 2, s[12:13]
.LBB9_35:                               ;   Parent Loop BB9_34 Depth=1
                                        ; =>  This Inner Loop Header: Depth=2
	global_load_b32 v7, v[8:9], off scope:SCOPE_DEV
	s_wait_loadcnt 0x0
	v_cmp_ne_u32_e32 vcc_lo, 0, v7
	s_or_b32 s15, vcc_lo, s15
	s_wait_xcnt 0x0
	s_and_not1_b32 exec_lo, exec_lo, s15
	s_cbranch_execnz .LBB9_35
; %bb.36:                               ;   in Loop: Header=BB9_34 Depth=1
	s_or_b32 exec_lo, exec_lo, s15
	v_subrev_nc_u32_e32 v7, s28, v17
	v_cmp_eq_u32_e32 vcc_lo, -1, v16
	global_inv scope:SCOPE_DEV
	s_mov_b32 s22, -1
	s_mov_b32 s15, exec_lo
	v_add_nc_u32_e32 v8, -1, v7
	s_delay_alu instid0(VALU_DEP_1)
	v_cndmask_b32_e32 v8, v16, v8, vcc_lo
	global_load_b32 v9, v8, s[8:9] scale_offset
	s_wait_loadcnt 0x0
	s_wait_xcnt 0x0
	v_cmpx_neq_f32_e32 0, v9
	s_cbranch_execz .LBB9_33
; %bb.37:                               ;   in Loop: Header=BB9_34 Depth=1
	v_div_scale_f32 v16, null, v9, v9, v15
	s_mov_b32 s22, exec_lo
	v_add_nc_u32_e32 v8, v14, v8
	v_rcp_f32_e32 v17, v16
	v_nop
	s_delay_alu instid0(TRANS32_DEP_1) | instskip(NEXT) | instid1(VALU_DEP_1)
	v_fma_f32 v18, -v16, v17, 1.0
	v_fmac_f32_e32 v17, v18, v17
	v_div_scale_f32 v18, vcc_lo, v15, v9, v15
	s_delay_alu instid0(VALU_DEP_1) | instskip(NEXT) | instid1(VALU_DEP_1)
	v_mul_f32_e32 v19, v18, v17
	v_fma_f32 v20, -v16, v19, v18
	s_delay_alu instid0(VALU_DEP_1) | instskip(NEXT) | instid1(VALU_DEP_1)
	v_fmac_f32_e32 v19, v20, v17
	v_fma_f32 v16, -v16, v19, v18
	s_delay_alu instid0(VALU_DEP_1) | instskip(NEXT) | instid1(VALU_DEP_1)
	v_div_fmas_f32 v16, v16, v17, v19
	v_div_fixup_f32 v15, v16, v9, v15
	global_store_b32 v[10:11], v15, off
	s_wait_xcnt 0x0
	v_cmpx_lt_i32_e64 v8, v7
	s_cbranch_execz .LBB9_32
; %bb.38:                               ;   in Loop: Header=BB9_34 Depth=1
	s_mov_b32 s23, 0
	s_branch .LBB9_40
.LBB9_39:                               ;   in Loop: Header=BB9_40 Depth=2
	s_wait_xcnt 0x0
	s_or_b32 exec_lo, exec_lo, s24
	v_add_nc_u32_e32 v8, 64, v8
	s_delay_alu instid0(VALU_DEP_1) | instskip(SKIP_1) | instid1(SALU_CYCLE_1)
	v_cmp_ge_i32_e32 vcc_lo, v8, v7
	s_or_b32 s23, vcc_lo, s23
	s_and_not1_b32 exec_lo, exec_lo, s23
	s_cbranch_execz .LBB9_32
.LBB9_40:                               ;   Parent Loop BB9_34 Depth=1
                                        ; =>  This Loop Header: Depth=2
                                        ;       Child Loop BB9_49 Depth 3
	global_load_b32 v10, v8, s[6:7] scale_offset
	v_ashrrev_i32_e32 v9, 31, v8
	v_mov_b32_e32 v11, 0x100
	s_mov_b32 s24, 0
                                        ; implicit-def: $sgpr25
                                        ; implicit-def: $sgpr26
                                        ; implicit-def: $sgpr27
	s_wait_loadcnt 0x0
	v_mul_lo_u32 v17, 0x67, v10
	s_branch .LBB9_49
.LBB9_41:                               ;   in Loop: Header=BB9_49 Depth=3
	s_or_b32 exec_lo, exec_lo, s41
	s_delay_alu instid0(SALU_CYCLE_1)
	s_or_not1_b32 s39, s39, exec_lo
	s_or_not1_b32 s40, s40, exec_lo
.LBB9_42:                               ;   in Loop: Header=BB9_49 Depth=3
	s_or_b32 exec_lo, exec_lo, s38
	s_delay_alu instid0(SALU_CYCLE_1)
	s_and_b32 s39, s39, exec_lo
	s_or_not1_b32 s38, s40, exec_lo
.LBB9_43:                               ;   in Loop: Header=BB9_49 Depth=3
	s_or_b32 exec_lo, exec_lo, s37
	s_delay_alu instid0(SALU_CYCLE_1)
	s_or_not1_b32 s37, s39, exec_lo
	s_or_not1_b32 s38, s38, exec_lo
.LBB9_44:                               ;   in Loop: Header=BB9_49 Depth=3
	s_or_b32 exec_lo, exec_lo, s36
	s_delay_alu instid0(SALU_CYCLE_1)
	s_and_b32 s37, s37, exec_lo
	s_or_not1_b32 s36, s38, exec_lo
.LBB9_45:                               ;   in Loop: Header=BB9_49 Depth=3
	s_or_b32 exec_lo, exec_lo, s35
	s_delay_alu instid0(SALU_CYCLE_1)
	s_or_not1_b32 s35, s37, exec_lo
	s_or_not1_b32 s36, s36, exec_lo
.LBB9_46:                               ;   in Loop: Header=BB9_49 Depth=3
	s_or_b32 exec_lo, exec_lo, s34
	s_delay_alu instid0(SALU_CYCLE_1)
	s_and_b32 s35, s35, exec_lo
	s_or_not1_b32 s34, s36, exec_lo
.LBB9_47:                               ;   in Loop: Header=BB9_49 Depth=3
	s_or_b32 exec_lo, exec_lo, s33
	s_delay_alu instid0(SALU_CYCLE_1)
	s_and_not1_b32 s27, s27, exec_lo
	s_and_b32 s33, s35, exec_lo
	s_and_not1_b32 s26, s26, exec_lo
	s_and_b32 s34, s34, exec_lo
	s_or_b32 s27, s27, s33
	s_or_b32 s26, s26, s34
.LBB9_48:                               ;   in Loop: Header=BB9_49 Depth=3
	s_or_b32 exec_lo, exec_lo, s31
	s_delay_alu instid0(SALU_CYCLE_1) | instskip(NEXT) | instid1(SALU_CYCLE_1)
	s_and_b32 s31, exec_lo, s26
	s_or_b32 s24, s31, s24
	s_and_not1_b32 s25, s25, exec_lo
	s_and_b32 s31, s27, exec_lo
	s_delay_alu instid0(SALU_CYCLE_1)
	s_or_b32 s25, s25, s31
	s_and_not1_b32 exec_lo, exec_lo, s24
	s_cbranch_execz .LBB9_58
.LBB9_49:                               ;   Parent Loop BB9_34 Depth=1
                                        ;     Parent Loop BB9_40 Depth=2
                                        ; =>    This Inner Loop Header: Depth=3
	s_delay_alu instid0(VALU_DEP_1) | instskip(SKIP_3) | instid1(VALU_DEP_1)
	v_and_b32_e32 v16, 0xff, v17
	s_or_b32 s27, s27, exec_lo
	s_or_b32 s26, s26, exec_lo
	s_mov_b32 s31, exec_lo
	v_lshl_add_u32 v18, v16, 2, v5
	ds_load_b32 v18, v18
	s_wait_dscnt 0x0
	s_wait_xcnt 0x0
	v_cmpx_ne_u32_e32 -1, v18
	s_cbranch_execz .LBB9_48
; %bb.50:                               ;   in Loop: Header=BB9_49 Depth=3
	s_mov_b32 s34, -1
	s_mov_b32 s35, 0
	s_mov_b32 s33, exec_lo
	v_cmpx_ne_u32_e64 v18, v10
	s_cbranch_execz .LBB9_47
; %bb.51:                               ;   in Loop: Header=BB9_49 Depth=3
	v_add_nc_u32_e32 v16, 1, v17
	s_mov_b32 s36, -1
	s_mov_b32 s35, -1
	s_mov_b32 s34, exec_lo
	s_delay_alu instid0(VALU_DEP_1) | instskip(NEXT) | instid1(VALU_DEP_1)
	v_and_b32_e32 v16, 0xff, v16
	v_lshl_add_u32 v18, v16, 2, v5
	ds_load_b32 v18, v18
	s_wait_dscnt 0x0
	v_cmpx_ne_u32_e32 -1, v18
	s_cbranch_execz .LBB9_46
; %bb.52:                               ;   in Loop: Header=BB9_49 Depth=3
	s_mov_b32 s37, 0
	s_mov_b32 s35, exec_lo
	v_cmpx_ne_u32_e64 v18, v10
	s_cbranch_execz .LBB9_45
; %bb.53:                               ;   in Loop: Header=BB9_49 Depth=3
	v_add_nc_u32_e32 v16, 2, v17
	s_mov_b32 s38, -1
	s_mov_b32 s37, -1
	s_mov_b32 s36, exec_lo
	s_delay_alu instid0(VALU_DEP_1) | instskip(NEXT) | instid1(VALU_DEP_1)
	v_and_b32_e32 v16, 0xff, v16
	v_lshl_add_u32 v18, v16, 2, v5
	ds_load_b32 v18, v18
	s_wait_dscnt 0x0
	v_cmpx_ne_u32_e32 -1, v18
	s_cbranch_execz .LBB9_44
; %bb.54:                               ;   in Loop: Header=BB9_49 Depth=3
	s_mov_b32 s39, 0
	s_mov_b32 s37, exec_lo
	v_cmpx_ne_u32_e64 v18, v10
	s_cbranch_execz .LBB9_43
; %bb.55:                               ;   in Loop: Header=BB9_49 Depth=3
	v_add_nc_u32_e32 v16, 3, v17
	s_mov_b32 s40, -1
	s_mov_b32 s39, -1
	s_mov_b32 s38, exec_lo
	s_delay_alu instid0(VALU_DEP_1) | instskip(NEXT) | instid1(VALU_DEP_1)
	v_and_b32_e32 v16, 0xff, v16
	v_lshl_add_u32 v17, v16, 2, v5
	ds_load_b32 v18, v17
                                        ; implicit-def: $vgpr17
	s_wait_dscnt 0x0
	v_cmpx_ne_u32_e32 -1, v18
	s_cbranch_execz .LBB9_42
; %bb.56:                               ;   in Loop: Header=BB9_49 Depth=3
	s_mov_b32 s39, 0
	s_mov_b32 s41, exec_lo
                                        ; implicit-def: $vgpr17
	v_cmpx_ne_u32_e64 v18, v10
	s_cbranch_execz .LBB9_41
; %bb.57:                               ;   in Loop: Header=BB9_49 Depth=3
	v_dual_add_nc_u32 v11, -4, v11 :: v_dual_add_nc_u32 v17, 1, v16
	s_mov_b32 s39, exec_lo
	s_delay_alu instid0(VALU_DEP_1)
	v_cmp_eq_u32_e32 vcc_lo, 0, v11
	s_or_not1_b32 s40, vcc_lo, exec_lo
	s_branch .LBB9_41
.LBB9_58:                               ;   in Loop: Header=BB9_40 Depth=2
	s_or_b32 exec_lo, exec_lo, s24
	s_xor_b32 s24, s25, -1
	s_delay_alu instid0(SALU_CYCLE_1) | instskip(NEXT) | instid1(SALU_CYCLE_1)
	s_and_saveexec_b32 s25, s24
	s_xor_b32 s24, exec_lo, s25
	s_cbranch_execz .LBB9_39
; %bb.59:                               ;   in Loop: Header=BB9_40 Depth=2
	v_lshl_add_u32 v10, v16, 2, v13
	ds_load_b32 v16, v10
	v_lshl_add_u64 v[10:11], v[8:9], 2, s[8:9]
	global_load_b32 v9, v[10:11], off
	s_wait_dscnt 0x0
	global_load_b32 v17, v16, s[8:9] scale_offset
	s_wait_loadcnt 0x0
	v_fma_f32 v9, -v15, v9, v17
	global_store_b32 v16, v9, s[8:9] scale_offset
	s_branch .LBB9_39
.LBB9_60:
	s_or_b32 exec_lo, exec_lo, s2
	s_mov_b32 s5, -1
	s_mov_b32 s4, exec_lo
	s_wait_storecnt 0x0
	v_cmpx_lt_i32_e32 -1, v4
	s_cbranch_execz .LBB9_76
; %bb.61:
	global_load_b32 v8, v4, s[8:9] scale_offset
	v_cmp_eq_u32_e64 s2, 0, v12
	s_wait_loadcnt 0x0
	v_cmp_gt_f32_e32 vcc_lo, 0, v8
	v_cndmask_b32_e64 v5, v8, -v8, vcc_lo
	s_and_not1_b32 vcc_lo, exec_lo, s29
	s_delay_alu instid0(VALU_DEP_1)
	v_cvt_f64_f32_e32 v[6:7], v5
	s_cbranch_vccnz .LBB9_65
; %bb.62:
	v_cvt_f64_f32_e32 v[10:11], s30
	s_cmp_eq_u64 s[20:21], 8
	s_cselect_b32 vcc_lo, -1, 0
	s_delay_alu instid0(VALU_DEP_1) | instskip(NEXT) | instid1(VALU_DEP_1)
	v_dual_cndmask_b32 v3, v11, v3 :: v_dual_cndmask_b32 v2, v10, v2
	v_cmp_ge_f64_e32 vcc_lo, v[2:3], v[6:7]
	s_and_b32 s6, s2, vcc_lo
	s_delay_alu instid0(SALU_CYCLE_1)
	s_and_saveexec_b32 s5, s6
	s_cbranch_execz .LBB9_64
; %bb.63:
	v_dual_mov_b32 v5, 0 :: v_dual_mov_b32 v9, s3
	s_delay_alu instid0(VALU_DEP_1)
	v_lshl_add_u64 v[2:3], v[4:5], 2, s[8:9]
	global_store_b32 v[2:3], v9, off
	global_wb scope:SCOPE_DEV
	s_wait_storecnt 0x0
	global_inv scope:SCOPE_DEV
.LBB9_64:
	s_wait_xcnt 0x0
	s_or_b32 exec_lo, exec_lo, s5
	s_mov_b32 s5, 0
.LBB9_65:
	s_delay_alu instid0(SALU_CYCLE_1)
	s_and_not1_b32 vcc_lo, exec_lo, s5
	s_cbranch_vccnz .LBB9_76
; %bb.66:
	s_load_b64 s[0:1], s[0:1], 0x48
	v_add_nc_u32_e32 v2, s28, v0
	s_wait_kmcnt 0x0
	s_delay_alu instid0(VALU_DEP_2) | instskip(SKIP_1) | instid1(SALU_CYCLE_1)
	v_cmp_ge_f64_e32 vcc_lo, s[0:1], v[6:7]
	s_and_b32 s1, s2, vcc_lo
	s_and_saveexec_b32 s0, s1
	s_cbranch_execz .LBB9_71
; %bb.67:
	s_mov_b32 s3, exec_lo
	s_brev_b32 s1, -2
.LBB9_68:                               ; =>This Inner Loop Header: Depth=1
	s_ctz_i32_b32 s5, s3
	s_delay_alu instid0(SALU_CYCLE_1) | instskip(SKIP_1) | instid1(SALU_CYCLE_1)
	v_readlane_b32 s6, v2, s5
	s_lshl_b32 s5, 1, s5
	s_and_not1_b32 s3, s3, s5
	s_min_i32 s1, s1, s6
	s_cmp_lg_u32 s3, 0
	s_cbranch_scc1 .LBB9_68
; %bb.69:
	v_mbcnt_lo_u32_b32 v3, exec_lo, 0
	s_mov_b32 s3, exec_lo
	s_delay_alu instid0(VALU_DEP_1)
	v_cmpx_eq_u32_e32 0, v3
	s_xor_b32 s3, exec_lo, s3
	s_cbranch_execz .LBB9_71
; %bb.70:
	v_dual_mov_b32 v3, 0 :: v_dual_mov_b32 v4, s1
	global_atomic_min_i32 v3, v4, s[18:19] scope:SCOPE_DEV
.LBB9_71:
	s_wait_xcnt 0x0
	s_or_b32 exec_lo, exec_lo, s0
	v_cmp_eq_f32_e32 vcc_lo, 0, v8
	s_and_b32 s0, s2, vcc_lo
	s_delay_alu instid0(SALU_CYCLE_1)
	s_and_b32 exec_lo, exec_lo, s0
	s_cbranch_execz .LBB9_76
; %bb.72:
	s_mov_b32 s1, exec_lo
	s_brev_b32 s0, -2
.LBB9_73:                               ; =>This Inner Loop Header: Depth=1
	s_ctz_i32_b32 s2, s1
	s_delay_alu instid0(SALU_CYCLE_1) | instskip(SKIP_1) | instid1(SALU_CYCLE_1)
	v_readlane_b32 s3, v2, s2
	s_lshl_b32 s2, 1, s2
	s_and_not1_b32 s1, s1, s2
	s_min_i32 s0, s0, s3
	s_cmp_lg_u32 s1, 0
	s_cbranch_scc1 .LBB9_73
; %bb.74:
	v_mbcnt_lo_u32_b32 v2, exec_lo, 0
	s_mov_b32 s1, exec_lo
	s_delay_alu instid0(VALU_DEP_1)
	v_cmpx_eq_u32_e32 0, v2
	s_xor_b32 s1, exec_lo, s1
	s_cbranch_execz .LBB9_76
; %bb.75:
	v_dual_mov_b32 v2, 0 :: v_dual_mov_b32 v3, s0
	global_atomic_min_i32 v2, v3, s[16:17] scope:SCOPE_DEV
.LBB9_76:
	s_wait_xcnt 0x0
	s_or_b32 exec_lo, exec_lo, s4
	v_cmp_eq_u32_e32 vcc_lo, 0, v12
	global_wb scope:SCOPE_DEV
	s_wait_loadcnt 0x0
	s_wait_storecnt 0x0
	global_inv scope:SCOPE_DEV
	s_and_b32 exec_lo, exec_lo, vcc_lo
	s_cbranch_execz .LBB9_78
; %bb.77:
	v_lshl_add_u64 v[0:1], v[0:1], 2, s[12:13]
	v_mov_b32_e32 v2, 1
	global_wb scope:SCOPE_DEV
	s_wait_loadcnt 0x0
	s_wait_storecnt 0x0
	global_store_b32 v[0:1], v2, off scope:SCOPE_DEV
.LBB9_78:
	s_endpgm
	.section	.rodata,"a",@progbits
	.p2align	6, 0x0
	.amdhsa_kernel _ZN9rocsparseL12csrilu0_hashILj256ELj64ELj4EfEEviPKiS2_PT2_S2_PiS2_S5_S5_d21rocsparse_index_base_imNS_24const_host_device_scalarIfEENS7_IdEENS7_IS3_EEb
		.amdhsa_group_segment_fixed_size 8192
		.amdhsa_private_segment_fixed_size 0
		.amdhsa_kernarg_size 124
		.amdhsa_user_sgpr_count 2
		.amdhsa_user_sgpr_dispatch_ptr 0
		.amdhsa_user_sgpr_queue_ptr 0
		.amdhsa_user_sgpr_kernarg_segment_ptr 1
		.amdhsa_user_sgpr_dispatch_id 0
		.amdhsa_user_sgpr_kernarg_preload_length 0
		.amdhsa_user_sgpr_kernarg_preload_offset 0
		.amdhsa_user_sgpr_private_segment_size 0
		.amdhsa_wavefront_size32 1
		.amdhsa_uses_dynamic_stack 0
		.amdhsa_enable_private_segment 0
		.amdhsa_system_sgpr_workgroup_id_x 1
		.amdhsa_system_sgpr_workgroup_id_y 0
		.amdhsa_system_sgpr_workgroup_id_z 0
		.amdhsa_system_sgpr_workgroup_info 0
		.amdhsa_system_vgpr_workitem_id 0
		.amdhsa_next_free_vgpr 21
		.amdhsa_next_free_sgpr 42
		.amdhsa_named_barrier_count 0
		.amdhsa_reserve_vcc 1
		.amdhsa_float_round_mode_32 0
		.amdhsa_float_round_mode_16_64 0
		.amdhsa_float_denorm_mode_32 3
		.amdhsa_float_denorm_mode_16_64 3
		.amdhsa_fp16_overflow 0
		.amdhsa_memory_ordered 1
		.amdhsa_forward_progress 1
		.amdhsa_inst_pref_size 22
		.amdhsa_round_robin_scheduling 0
		.amdhsa_exception_fp_ieee_invalid_op 0
		.amdhsa_exception_fp_denorm_src 0
		.amdhsa_exception_fp_ieee_div_zero 0
		.amdhsa_exception_fp_ieee_overflow 0
		.amdhsa_exception_fp_ieee_underflow 0
		.amdhsa_exception_fp_ieee_inexact 0
		.amdhsa_exception_int_div_zero 0
	.end_amdhsa_kernel
	.section	.text._ZN9rocsparseL12csrilu0_hashILj256ELj64ELj4EfEEviPKiS2_PT2_S2_PiS2_S5_S5_d21rocsparse_index_base_imNS_24const_host_device_scalarIfEENS7_IdEENS7_IS3_EEb,"axG",@progbits,_ZN9rocsparseL12csrilu0_hashILj256ELj64ELj4EfEEviPKiS2_PT2_S2_PiS2_S5_S5_d21rocsparse_index_base_imNS_24const_host_device_scalarIfEENS7_IdEENS7_IS3_EEb,comdat
.Lfunc_end9:
	.size	_ZN9rocsparseL12csrilu0_hashILj256ELj64ELj4EfEEviPKiS2_PT2_S2_PiS2_S5_S5_d21rocsparse_index_base_imNS_24const_host_device_scalarIfEENS7_IdEENS7_IS3_EEb, .Lfunc_end9-_ZN9rocsparseL12csrilu0_hashILj256ELj64ELj4EfEEviPKiS2_PT2_S2_PiS2_S5_S5_d21rocsparse_index_base_imNS_24const_host_device_scalarIfEENS7_IdEENS7_IS3_EEb
                                        ; -- End function
	.set _ZN9rocsparseL12csrilu0_hashILj256ELj64ELj4EfEEviPKiS2_PT2_S2_PiS2_S5_S5_d21rocsparse_index_base_imNS_24const_host_device_scalarIfEENS7_IdEENS7_IS3_EEb.num_vgpr, 21
	.set _ZN9rocsparseL12csrilu0_hashILj256ELj64ELj4EfEEviPKiS2_PT2_S2_PiS2_S5_S5_d21rocsparse_index_base_imNS_24const_host_device_scalarIfEENS7_IdEENS7_IS3_EEb.num_agpr, 0
	.set _ZN9rocsparseL12csrilu0_hashILj256ELj64ELj4EfEEviPKiS2_PT2_S2_PiS2_S5_S5_d21rocsparse_index_base_imNS_24const_host_device_scalarIfEENS7_IdEENS7_IS3_EEb.numbered_sgpr, 42
	.set _ZN9rocsparseL12csrilu0_hashILj256ELj64ELj4EfEEviPKiS2_PT2_S2_PiS2_S5_S5_d21rocsparse_index_base_imNS_24const_host_device_scalarIfEENS7_IdEENS7_IS3_EEb.num_named_barrier, 0
	.set _ZN9rocsparseL12csrilu0_hashILj256ELj64ELj4EfEEviPKiS2_PT2_S2_PiS2_S5_S5_d21rocsparse_index_base_imNS_24const_host_device_scalarIfEENS7_IdEENS7_IS3_EEb.private_seg_size, 0
	.set _ZN9rocsparseL12csrilu0_hashILj256ELj64ELj4EfEEviPKiS2_PT2_S2_PiS2_S5_S5_d21rocsparse_index_base_imNS_24const_host_device_scalarIfEENS7_IdEENS7_IS3_EEb.uses_vcc, 1
	.set _ZN9rocsparseL12csrilu0_hashILj256ELj64ELj4EfEEviPKiS2_PT2_S2_PiS2_S5_S5_d21rocsparse_index_base_imNS_24const_host_device_scalarIfEENS7_IdEENS7_IS3_EEb.uses_flat_scratch, 0
	.set _ZN9rocsparseL12csrilu0_hashILj256ELj64ELj4EfEEviPKiS2_PT2_S2_PiS2_S5_S5_d21rocsparse_index_base_imNS_24const_host_device_scalarIfEENS7_IdEENS7_IS3_EEb.has_dyn_sized_stack, 0
	.set _ZN9rocsparseL12csrilu0_hashILj256ELj64ELj4EfEEviPKiS2_PT2_S2_PiS2_S5_S5_d21rocsparse_index_base_imNS_24const_host_device_scalarIfEENS7_IdEENS7_IS3_EEb.has_recursion, 0
	.set _ZN9rocsparseL12csrilu0_hashILj256ELj64ELj4EfEEviPKiS2_PT2_S2_PiS2_S5_S5_d21rocsparse_index_base_imNS_24const_host_device_scalarIfEENS7_IdEENS7_IS3_EEb.has_indirect_call, 0
	.section	.AMDGPU.csdata,"",@progbits
; Kernel info:
; codeLenInByte = 2808
; TotalNumSgprs: 44
; NumVgprs: 21
; ScratchSize: 0
; MemoryBound: 0
; FloatMode: 240
; IeeeMode: 1
; LDSByteSize: 8192 bytes/workgroup (compile time only)
; SGPRBlocks: 0
; VGPRBlocks: 1
; NumSGPRsForWavesPerEU: 44
; NumVGPRsForWavesPerEU: 21
; NamedBarCnt: 0
; Occupancy: 16
; WaveLimiterHint : 1
; COMPUTE_PGM_RSRC2:SCRATCH_EN: 0
; COMPUTE_PGM_RSRC2:USER_SGPR: 2
; COMPUTE_PGM_RSRC2:TRAP_HANDLER: 0
; COMPUTE_PGM_RSRC2:TGID_X_EN: 1
; COMPUTE_PGM_RSRC2:TGID_Y_EN: 0
; COMPUTE_PGM_RSRC2:TGID_Z_EN: 0
; COMPUTE_PGM_RSRC2:TIDIG_COMP_CNT: 0
	.section	.text._ZN9rocsparseL12csrilu0_hashILj256ELj64ELj8EfEEviPKiS2_PT2_S2_PiS2_S5_S5_d21rocsparse_index_base_imNS_24const_host_device_scalarIfEENS7_IdEENS7_IS3_EEb,"axG",@progbits,_ZN9rocsparseL12csrilu0_hashILj256ELj64ELj8EfEEviPKiS2_PT2_S2_PiS2_S5_S5_d21rocsparse_index_base_imNS_24const_host_device_scalarIfEENS7_IdEENS7_IS3_EEb,comdat
	.globl	_ZN9rocsparseL12csrilu0_hashILj256ELj64ELj8EfEEviPKiS2_PT2_S2_PiS2_S5_S5_d21rocsparse_index_base_imNS_24const_host_device_scalarIfEENS7_IdEENS7_IS3_EEb ; -- Begin function _ZN9rocsparseL12csrilu0_hashILj256ELj64ELj8EfEEviPKiS2_PT2_S2_PiS2_S5_S5_d21rocsparse_index_base_imNS_24const_host_device_scalarIfEENS7_IdEENS7_IS3_EEb
	.p2align	8
	.type	_ZN9rocsparseL12csrilu0_hashILj256ELj64ELj8EfEEviPKiS2_PT2_S2_PiS2_S5_S5_d21rocsparse_index_base_imNS_24const_host_device_scalarIfEENS7_IdEENS7_IS3_EEb,@function
_ZN9rocsparseL12csrilu0_hashILj256ELj64ELj8EfEEviPKiS2_PT2_S2_PiS2_S5_S5_d21rocsparse_index_base_imNS_24const_host_device_scalarIfEENS7_IdEENS7_IS3_EEb: ; @_ZN9rocsparseL12csrilu0_hashILj256ELj64ELj8EfEEviPKiS2_PT2_S2_PiS2_S5_S5_d21rocsparse_index_base_imNS_24const_host_device_scalarIfEENS7_IdEENS7_IS3_EEb
; %bb.0:
	s_clause 0x2
	s_load_b32 s2, s[0:1], 0x78
	s_load_b64 s[28:29], s[0:1], 0x50
	s_load_b256 s[20:27], s[0:1], 0x58
	s_wait_kmcnt 0x0
	s_bitcmp1_b32 s2, 0
	s_cselect_b32 s2, -1, 0
	s_cmp_eq_u32 s29, 0
	s_cselect_b32 s4, -1, 0
	s_cmp_lg_u32 s29, 0
	s_cselect_b32 s29, -1, 0
	s_or_b32 s6, s4, s2
	s_delay_alu instid0(SALU_CYCLE_1)
	s_xor_b32 s5, s6, -1
	s_and_b32 s2, s4, exec_lo
	s_cselect_b32 s3, 0, s25
	s_cselect_b32 s2, 0, s24
	s_cselect_b32 s30, 0, s22
	s_and_b32 vcc_lo, exec_lo, s6
	s_cbranch_vccnz .LBB10_2
; %bb.1:
	s_load_b32 s30, s[22:23], 0x0
	s_mov_b64 s[2:3], s[24:25]
.LBB10_2:
	s_delay_alu instid0(SALU_CYCLE_1)
	v_mov_b64_e32 v[2:3], s[2:3]
	v_cndmask_b32_e64 v1, 0, 1, s5
	s_and_not1_b32 vcc_lo, exec_lo, s5
	s_cbranch_vccnz .LBB10_4
; %bb.3:
	v_mov_b32_e32 v2, 0
	flat_load_b64 v[2:3], v2, s[24:25]
.LBB10_4:
	s_delay_alu instid0(VALU_DEP_1)
	v_cmp_ne_u32_e32 vcc_lo, 1, v1
	s_and_b32 s2, s4, exec_lo
	s_cselect_b32 s3, 0, s26
	s_cbranch_vccnz .LBB10_6
; %bb.5:
	s_load_b32 s3, s[26:27], 0x0
.LBB10_6:
	s_load_b32 s2, s[0:1], 0x0
	s_bfe_u32 s4, ttmp6, 0x4000c
	v_dual_lshlrev_b32 v1, 3, v0 :: v_dual_bitop2_b32 v12, 63, v0 bitop3:0x40
	s_add_co_i32 s4, s4, 1
	s_and_b32 s5, ttmp6, 15
	s_mul_i32 s4, ttmp9, s4
	s_getreg_b32 s6, hwreg(HW_REG_IB_STS2, 6, 4)
	s_add_co_i32 s5, s5, s4
	s_cmp_eq_u32 s6, 0
	v_and_b32_e32 v9, 0x600, v1
	v_dual_mov_b32 v1, -1 :: v_dual_lshrrev_b32 v0, 6, v0
	s_cselect_b32 s4, ttmp9, s5
	s_delay_alu instid0(SALU_CYCLE_1) | instskip(NEXT) | instid1(VALU_DEP_2)
	s_lshl_b32 s4, s4, 2
	v_lshl_or_b32 v5, v9, 2, 0x2000
	s_delay_alu instid0(VALU_DEP_2) | instskip(NEXT) | instid1(VALU_DEP_2)
	v_and_or_b32 v0, 0x3fffffc, s4, v0
	v_lshl_or_b32 v4, v12, 2, v5
	s_wait_kmcnt 0x0
	s_delay_alu instid0(VALU_DEP_2)
	v_cmp_gt_i32_e32 vcc_lo, s2, v0
	ds_store_2addr_stride64_b32 v4, v1, v1 offset1:1
	ds_store_2addr_stride64_b32 v4, v1, v1 offset0:2 offset1:3
	ds_store_2addr_stride64_b32 v4, v1, v1 offset0:4 offset1:5
	;; [unrolled: 1-line block ×3, first 2 shown]
	s_wait_loadcnt_dscnt 0x0
	s_and_saveexec_b32 s2, vcc_lo
	s_cbranch_execz .LBB10_78
; %bb.7:
	s_load_b512 s[4:19], s[0:1], 0x8
	s_mov_b32 s2, exec_lo
	v_lshlrev_b32_e32 v13, 2, v9
	s_wait_kmcnt 0x0
	global_load_b32 v0, v0, s[14:15] scale_offset
	s_wait_loadcnt 0x0
	v_ashrrev_i32_e32 v1, 31, v0
	s_delay_alu instid0(VALU_DEP_1)
	v_lshl_add_u64 v[6:7], v[0:1], 2, s[4:5]
	global_load_b64 v[10:11], v[6:7], off
	global_load_b32 v4, v0, s[10:11] scale_offset
	s_wait_loadcnt 0x1
	s_wait_xcnt 0x1
	v_subrev_nc_u32_e32 v6, s28, v10
	v_subrev_nc_u32_e32 v7, s28, v11
	s_delay_alu instid0(VALU_DEP_2) | instskip(SKIP_1) | instid1(VALU_DEP_1)
	v_add_nc_u32_e32 v8, v6, v12
	s_wait_xcnt 0x0
	v_cmpx_lt_i32_e64 v8, v7
	s_cbranch_execz .LBB10_30
; %bb.8:
	v_mov_b32_e32 v9, -1
	s_mov_b32 s14, 0
	s_branch .LBB10_10
.LBB10_9:                               ;   in Loop: Header=BB10_10 Depth=1
	s_or_b32 exec_lo, exec_lo, s15
	v_add_nc_u32_e32 v8, 64, v8
	s_delay_alu instid0(VALU_DEP_1) | instskip(SKIP_1) | instid1(SALU_CYCLE_1)
	v_cmp_ge_i32_e32 vcc_lo, v8, v7
	s_or_b32 s14, vcc_lo, s14
	s_and_not1_b32 exec_lo, exec_lo, s14
	s_cbranch_execz .LBB10_30
.LBB10_10:                              ; =>This Loop Header: Depth=1
                                        ;     Child Loop BB10_19 Depth 2
	global_load_b32 v10, v8, s[6:7] scale_offset
	v_mov_b32_e32 v11, 0x200
	s_mov_b32 s15, 0
                                        ; implicit-def: $sgpr22
                                        ; implicit-def: $sgpr23
                                        ; implicit-def: $sgpr24
	s_wait_loadcnt 0x0
	v_mul_lo_u32 v15, 0x67, v10
	s_branch .LBB10_19
.LBB10_11:                              ;   in Loop: Header=BB10_19 Depth=2
	s_or_b32 exec_lo, exec_lo, s38
	s_delay_alu instid0(SALU_CYCLE_1)
	s_or_not1_b32 s36, s36, exec_lo
	s_or_not1_b32 s37, s37, exec_lo
.LBB10_12:                              ;   in Loop: Header=BB10_19 Depth=2
	s_or_b32 exec_lo, exec_lo, s35
	s_delay_alu instid0(SALU_CYCLE_1)
	s_and_b32 s36, s36, exec_lo
	s_or_not1_b32 s35, s37, exec_lo
.LBB10_13:                              ;   in Loop: Header=BB10_19 Depth=2
	s_or_b32 exec_lo, exec_lo, s34
	s_delay_alu instid0(SALU_CYCLE_1)
	s_or_not1_b32 s34, s36, exec_lo
	s_or_not1_b32 s35, s35, exec_lo
.LBB10_14:                              ;   in Loop: Header=BB10_19 Depth=2
	s_or_b32 exec_lo, exec_lo, s33
	s_delay_alu instid0(SALU_CYCLE_1)
	s_and_b32 s34, s34, exec_lo
	s_or_not1_b32 s33, s35, exec_lo
.LBB10_15:                              ;   in Loop: Header=BB10_19 Depth=2
	s_or_b32 exec_lo, exec_lo, s31
	s_delay_alu instid0(SALU_CYCLE_1)
	s_or_not1_b32 s31, s34, exec_lo
	s_or_not1_b32 s33, s33, exec_lo
.LBB10_16:                              ;   in Loop: Header=BB10_19 Depth=2
	s_or_b32 exec_lo, exec_lo, s27
	s_delay_alu instid0(SALU_CYCLE_1)
	s_and_b32 s31, s31, exec_lo
	s_or_not1_b32 s27, s33, exec_lo
.LBB10_17:                              ;   in Loop: Header=BB10_19 Depth=2
	s_or_b32 exec_lo, exec_lo, s26
	s_delay_alu instid0(SALU_CYCLE_1)
	s_and_not1_b32 s24, s24, exec_lo
	s_and_b32 s26, s31, exec_lo
	s_and_not1_b32 s23, s23, exec_lo
	s_and_b32 s27, s27, exec_lo
	s_or_b32 s24, s24, s26
	s_or_b32 s23, s23, s27
.LBB10_18:                              ;   in Loop: Header=BB10_19 Depth=2
	s_or_b32 exec_lo, exec_lo, s25
	s_delay_alu instid0(SALU_CYCLE_1) | instskip(NEXT) | instid1(SALU_CYCLE_1)
	s_and_b32 s25, exec_lo, s23
	s_or_b32 s15, s25, s15
	s_and_not1_b32 s22, s22, exec_lo
	s_and_b32 s25, s24, exec_lo
	s_delay_alu instid0(SALU_CYCLE_1)
	s_or_b32 s22, s22, s25
	s_and_not1_b32 exec_lo, exec_lo, s15
	s_cbranch_execz .LBB10_28
.LBB10_19:                              ;   Parent Loop BB10_10 Depth=1
                                        ; =>  This Inner Loop Header: Depth=2
	s_delay_alu instid0(VALU_DEP_1) | instskip(SKIP_3) | instid1(VALU_DEP_1)
	v_and_b32_e32 v14, 0x1ff, v15
	s_or_b32 s24, s24, exec_lo
	s_or_b32 s23, s23, exec_lo
	s_mov_b32 s25, exec_lo
	v_lshl_add_u32 v16, v14, 2, v5
	ds_load_b32 v17, v16
	s_wait_dscnt 0x0
	s_wait_xcnt 0x0
	v_cmpx_ne_u32_e64 v17, v10
	s_cbranch_execz .LBB10_18
; %bb.20:                               ;   in Loop: Header=BB10_19 Depth=2
	ds_cmpstore_rtn_b32 v16, v16, v10, v9
	s_mov_b32 s27, -1
	s_mov_b32 s31, 0
	s_mov_b32 s26, exec_lo
	s_wait_dscnt 0x0
	v_cmpx_ne_u32_e32 -1, v16
	s_cbranch_execz .LBB10_17
; %bb.21:                               ;   in Loop: Header=BB10_19 Depth=2
	v_add_nc_u32_e32 v14, 1, v15
	s_mov_b32 s33, -1
	s_mov_b32 s31, -1
	s_mov_b32 s27, exec_lo
	s_delay_alu instid0(VALU_DEP_1) | instskip(NEXT) | instid1(VALU_DEP_1)
	v_and_b32_e32 v14, 0x1ff, v14
	v_lshl_add_u32 v16, v14, 2, v5
	ds_load_b32 v17, v16
	s_wait_dscnt 0x0
	v_cmpx_ne_u32_e64 v17, v10
	s_cbranch_execz .LBB10_16
; %bb.22:                               ;   in Loop: Header=BB10_19 Depth=2
	ds_cmpstore_rtn_b32 v16, v16, v10, v9
	s_mov_b32 s34, 0
	s_mov_b32 s31, exec_lo
	s_wait_dscnt 0x0
	v_cmpx_ne_u32_e32 -1, v16
	s_cbranch_execz .LBB10_15
; %bb.23:                               ;   in Loop: Header=BB10_19 Depth=2
	v_add_nc_u32_e32 v14, 2, v15
	s_mov_b32 s35, -1
	s_mov_b32 s34, -1
	s_mov_b32 s33, exec_lo
	s_delay_alu instid0(VALU_DEP_1) | instskip(NEXT) | instid1(VALU_DEP_1)
	v_and_b32_e32 v14, 0x1ff, v14
	v_lshl_add_u32 v16, v14, 2, v5
	ds_load_b32 v17, v16
	s_wait_dscnt 0x0
	v_cmpx_ne_u32_e64 v17, v10
	s_cbranch_execz .LBB10_14
; %bb.24:                               ;   in Loop: Header=BB10_19 Depth=2
	ds_cmpstore_rtn_b32 v16, v16, v10, v9
	s_mov_b32 s36, 0
	s_mov_b32 s34, exec_lo
	s_wait_dscnt 0x0
	v_cmpx_ne_u32_e32 -1, v16
	s_cbranch_execz .LBB10_13
; %bb.25:                               ;   in Loop: Header=BB10_19 Depth=2
	v_add_nc_u32_e32 v14, 3, v15
	s_mov_b32 s37, -1
	s_mov_b32 s36, -1
	s_delay_alu instid0(VALU_DEP_1) | instskip(NEXT) | instid1(VALU_DEP_1)
	v_and_b32_e32 v14, 0x1ff, v14
	v_lshl_add_u32 v16, v14, 2, v5
	ds_load_b32 v15, v16
	s_wait_dscnt 0x0
	v_cmp_ne_u32_e32 vcc_lo, v15, v10
                                        ; implicit-def: $vgpr15
	s_and_saveexec_b32 s35, vcc_lo
	s_cbranch_execz .LBB10_12
; %bb.26:                               ;   in Loop: Header=BB10_19 Depth=2
	ds_cmpstore_rtn_b32 v15, v16, v10, v9
	s_mov_b32 s36, 0
	s_wait_dscnt 0x0
	v_cmp_ne_u32_e32 vcc_lo, -1, v15
                                        ; implicit-def: $vgpr15
	s_and_saveexec_b32 s38, vcc_lo
	s_cbranch_execz .LBB10_11
; %bb.27:                               ;   in Loop: Header=BB10_19 Depth=2
	v_dual_add_nc_u32 v11, -4, v11 :: v_dual_add_nc_u32 v15, 1, v14
	s_mov_b32 s36, exec_lo
	s_delay_alu instid0(VALU_DEP_1)
	v_cmp_eq_u32_e32 vcc_lo, 0, v11
	s_or_not1_b32 s37, vcc_lo, exec_lo
	s_branch .LBB10_11
.LBB10_28:                              ;   in Loop: Header=BB10_10 Depth=1
	s_or_b32 exec_lo, exec_lo, s15
	s_xor_b32 s15, s22, -1
	s_delay_alu instid0(SALU_CYCLE_1) | instskip(NEXT) | instid1(SALU_CYCLE_1)
	s_and_saveexec_b32 s22, s15
	s_xor_b32 s15, exec_lo, s22
	s_cbranch_execz .LBB10_9
; %bb.29:                               ;   in Loop: Header=BB10_10 Depth=1
	v_lshl_add_u32 v10, v14, 2, v13
	ds_store_b32 v10, v8
	s_branch .LBB10_9
.LBB10_30:
	s_or_b32 exec_lo, exec_lo, s2
	s_delay_alu instid0(SALU_CYCLE_1)
	s_mov_b32 s2, exec_lo
	s_wait_loadcnt_dscnt 0x0
	v_cmpx_lt_i32_e64 v6, v4
	s_cbranch_execz .LBB10_60
; %bb.31:
	v_add_nc_u32_e32 v14, 1, v12
	s_mov_b32 s14, 0
	s_branch .LBB10_34
.LBB10_32:                              ;   in Loop: Header=BB10_34 Depth=1
	s_or_b32 exec_lo, exec_lo, s22
	v_add_nc_u32_e32 v6, 1, v6
	s_delay_alu instid0(VALU_DEP_1)
	v_cmp_ge_i32_e32 vcc_lo, v6, v4
	s_or_not1_b32 s22, vcc_lo, exec_lo
.LBB10_33:                              ;   in Loop: Header=BB10_34 Depth=1
	s_or_b32 exec_lo, exec_lo, s15
	s_delay_alu instid0(SALU_CYCLE_1) | instskip(NEXT) | instid1(SALU_CYCLE_1)
	s_and_b32 s15, exec_lo, s22
	s_or_b32 s14, s15, s14
	s_delay_alu instid0(SALU_CYCLE_1)
	s_and_not1_b32 exec_lo, exec_lo, s14
	s_cbranch_execz .LBB10_60
.LBB10_34:                              ; =>This Loop Header: Depth=1
                                        ;     Child Loop BB10_35 Depth 2
                                        ;     Child Loop BB10_40 Depth 2
                                        ;       Child Loop BB10_49 Depth 3
	s_clause 0x1
	global_load_b32 v7, v6, s[6:7] scale_offset
	global_load_b32 v15, v6, s[8:9] scale_offset
	s_mov_b32 s15, 0
	s_wait_loadcnt 0x1
	v_subrev_nc_u32_e32 v8, s28, v7
	v_ashrrev_i32_e32 v7, 31, v6
	s_clause 0x1
	global_load_b32 v17, v8, s[4:5] offset:4 scale_offset
	global_load_b32 v16, v8, s[10:11] scale_offset
	v_ashrrev_i32_e32 v9, 31, v8
	v_lshl_add_u64 v[10:11], v[6:7], 2, s[8:9]
	s_wait_xcnt 0x0
	s_delay_alu instid0(VALU_DEP_2)
	v_lshl_add_u64 v[8:9], v[8:9], 2, s[12:13]
.LBB10_35:                              ;   Parent Loop BB10_34 Depth=1
                                        ; =>  This Inner Loop Header: Depth=2
	global_load_b32 v7, v[8:9], off scope:SCOPE_DEV
	s_wait_loadcnt 0x0
	v_cmp_ne_u32_e32 vcc_lo, 0, v7
	s_or_b32 s15, vcc_lo, s15
	s_wait_xcnt 0x0
	s_and_not1_b32 exec_lo, exec_lo, s15
	s_cbranch_execnz .LBB10_35
; %bb.36:                               ;   in Loop: Header=BB10_34 Depth=1
	s_or_b32 exec_lo, exec_lo, s15
	v_subrev_nc_u32_e32 v7, s28, v17
	v_cmp_eq_u32_e32 vcc_lo, -1, v16
	global_inv scope:SCOPE_DEV
	s_mov_b32 s22, -1
	s_mov_b32 s15, exec_lo
	v_add_nc_u32_e32 v8, -1, v7
	s_delay_alu instid0(VALU_DEP_1)
	v_cndmask_b32_e32 v8, v16, v8, vcc_lo
	global_load_b32 v9, v8, s[8:9] scale_offset
	s_wait_loadcnt 0x0
	s_wait_xcnt 0x0
	v_cmpx_neq_f32_e32 0, v9
	s_cbranch_execz .LBB10_33
; %bb.37:                               ;   in Loop: Header=BB10_34 Depth=1
	v_div_scale_f32 v16, null, v9, v9, v15
	s_mov_b32 s22, exec_lo
	v_add_nc_u32_e32 v8, v14, v8
	v_rcp_f32_e32 v17, v16
	v_nop
	s_delay_alu instid0(TRANS32_DEP_1) | instskip(NEXT) | instid1(VALU_DEP_1)
	v_fma_f32 v18, -v16, v17, 1.0
	v_fmac_f32_e32 v17, v18, v17
	v_div_scale_f32 v18, vcc_lo, v15, v9, v15
	s_delay_alu instid0(VALU_DEP_1) | instskip(NEXT) | instid1(VALU_DEP_1)
	v_mul_f32_e32 v19, v18, v17
	v_fma_f32 v20, -v16, v19, v18
	s_delay_alu instid0(VALU_DEP_1) | instskip(NEXT) | instid1(VALU_DEP_1)
	v_fmac_f32_e32 v19, v20, v17
	v_fma_f32 v16, -v16, v19, v18
	s_delay_alu instid0(VALU_DEP_1) | instskip(NEXT) | instid1(VALU_DEP_1)
	v_div_fmas_f32 v16, v16, v17, v19
	v_div_fixup_f32 v15, v16, v9, v15
	global_store_b32 v[10:11], v15, off
	s_wait_xcnt 0x0
	v_cmpx_lt_i32_e64 v8, v7
	s_cbranch_execz .LBB10_32
; %bb.38:                               ;   in Loop: Header=BB10_34 Depth=1
	s_mov_b32 s23, 0
	s_branch .LBB10_40
.LBB10_39:                              ;   in Loop: Header=BB10_40 Depth=2
	s_wait_xcnt 0x0
	s_or_b32 exec_lo, exec_lo, s24
	v_add_nc_u32_e32 v8, 64, v8
	s_delay_alu instid0(VALU_DEP_1) | instskip(SKIP_1) | instid1(SALU_CYCLE_1)
	v_cmp_ge_i32_e32 vcc_lo, v8, v7
	s_or_b32 s23, vcc_lo, s23
	s_and_not1_b32 exec_lo, exec_lo, s23
	s_cbranch_execz .LBB10_32
.LBB10_40:                              ;   Parent Loop BB10_34 Depth=1
                                        ; =>  This Loop Header: Depth=2
                                        ;       Child Loop BB10_49 Depth 3
	global_load_b32 v10, v8, s[6:7] scale_offset
	v_ashrrev_i32_e32 v9, 31, v8
	v_mov_b32_e32 v11, 0x200
	s_mov_b32 s24, 0
                                        ; implicit-def: $sgpr25
                                        ; implicit-def: $sgpr26
                                        ; implicit-def: $sgpr27
	s_wait_loadcnt 0x0
	v_mul_lo_u32 v17, 0x67, v10
	s_branch .LBB10_49
.LBB10_41:                              ;   in Loop: Header=BB10_49 Depth=3
	s_or_b32 exec_lo, exec_lo, s41
	s_delay_alu instid0(SALU_CYCLE_1)
	s_or_not1_b32 s39, s39, exec_lo
	s_or_not1_b32 s40, s40, exec_lo
.LBB10_42:                              ;   in Loop: Header=BB10_49 Depth=3
	s_or_b32 exec_lo, exec_lo, s38
	s_delay_alu instid0(SALU_CYCLE_1)
	s_and_b32 s39, s39, exec_lo
	s_or_not1_b32 s38, s40, exec_lo
.LBB10_43:                              ;   in Loop: Header=BB10_49 Depth=3
	s_or_b32 exec_lo, exec_lo, s37
	s_delay_alu instid0(SALU_CYCLE_1)
	s_or_not1_b32 s37, s39, exec_lo
	s_or_not1_b32 s38, s38, exec_lo
.LBB10_44:                              ;   in Loop: Header=BB10_49 Depth=3
	s_or_b32 exec_lo, exec_lo, s36
	s_delay_alu instid0(SALU_CYCLE_1)
	s_and_b32 s37, s37, exec_lo
	s_or_not1_b32 s36, s38, exec_lo
.LBB10_45:                              ;   in Loop: Header=BB10_49 Depth=3
	s_or_b32 exec_lo, exec_lo, s35
	s_delay_alu instid0(SALU_CYCLE_1)
	s_or_not1_b32 s35, s37, exec_lo
	s_or_not1_b32 s36, s36, exec_lo
.LBB10_46:                              ;   in Loop: Header=BB10_49 Depth=3
	s_or_b32 exec_lo, exec_lo, s34
	s_delay_alu instid0(SALU_CYCLE_1)
	s_and_b32 s35, s35, exec_lo
	s_or_not1_b32 s34, s36, exec_lo
.LBB10_47:                              ;   in Loop: Header=BB10_49 Depth=3
	s_or_b32 exec_lo, exec_lo, s33
	s_delay_alu instid0(SALU_CYCLE_1)
	s_and_not1_b32 s27, s27, exec_lo
	s_and_b32 s33, s35, exec_lo
	s_and_not1_b32 s26, s26, exec_lo
	s_and_b32 s34, s34, exec_lo
	s_or_b32 s27, s27, s33
	s_or_b32 s26, s26, s34
.LBB10_48:                              ;   in Loop: Header=BB10_49 Depth=3
	s_or_b32 exec_lo, exec_lo, s31
	s_delay_alu instid0(SALU_CYCLE_1) | instskip(NEXT) | instid1(SALU_CYCLE_1)
	s_and_b32 s31, exec_lo, s26
	s_or_b32 s24, s31, s24
	s_and_not1_b32 s25, s25, exec_lo
	s_and_b32 s31, s27, exec_lo
	s_delay_alu instid0(SALU_CYCLE_1)
	s_or_b32 s25, s25, s31
	s_and_not1_b32 exec_lo, exec_lo, s24
	s_cbranch_execz .LBB10_58
.LBB10_49:                              ;   Parent Loop BB10_34 Depth=1
                                        ;     Parent Loop BB10_40 Depth=2
                                        ; =>    This Inner Loop Header: Depth=3
	s_delay_alu instid0(VALU_DEP_1) | instskip(SKIP_3) | instid1(VALU_DEP_1)
	v_and_b32_e32 v16, 0x1ff, v17
	s_or_b32 s27, s27, exec_lo
	s_or_b32 s26, s26, exec_lo
	s_mov_b32 s31, exec_lo
	v_lshl_add_u32 v18, v16, 2, v5
	ds_load_b32 v18, v18
	s_wait_dscnt 0x0
	s_wait_xcnt 0x0
	v_cmpx_ne_u32_e32 -1, v18
	s_cbranch_execz .LBB10_48
; %bb.50:                               ;   in Loop: Header=BB10_49 Depth=3
	s_mov_b32 s34, -1
	s_mov_b32 s35, 0
	s_mov_b32 s33, exec_lo
	v_cmpx_ne_u32_e64 v18, v10
	s_cbranch_execz .LBB10_47
; %bb.51:                               ;   in Loop: Header=BB10_49 Depth=3
	v_add_nc_u32_e32 v16, 1, v17
	s_mov_b32 s36, -1
	s_mov_b32 s35, -1
	s_mov_b32 s34, exec_lo
	s_delay_alu instid0(VALU_DEP_1) | instskip(NEXT) | instid1(VALU_DEP_1)
	v_and_b32_e32 v16, 0x1ff, v16
	v_lshl_add_u32 v18, v16, 2, v5
	ds_load_b32 v18, v18
	s_wait_dscnt 0x0
	v_cmpx_ne_u32_e32 -1, v18
	s_cbranch_execz .LBB10_46
; %bb.52:                               ;   in Loop: Header=BB10_49 Depth=3
	s_mov_b32 s37, 0
	s_mov_b32 s35, exec_lo
	v_cmpx_ne_u32_e64 v18, v10
	s_cbranch_execz .LBB10_45
; %bb.53:                               ;   in Loop: Header=BB10_49 Depth=3
	v_add_nc_u32_e32 v16, 2, v17
	s_mov_b32 s38, -1
	s_mov_b32 s37, -1
	s_mov_b32 s36, exec_lo
	s_delay_alu instid0(VALU_DEP_1) | instskip(NEXT) | instid1(VALU_DEP_1)
	v_and_b32_e32 v16, 0x1ff, v16
	v_lshl_add_u32 v18, v16, 2, v5
	ds_load_b32 v18, v18
	s_wait_dscnt 0x0
	v_cmpx_ne_u32_e32 -1, v18
	s_cbranch_execz .LBB10_44
; %bb.54:                               ;   in Loop: Header=BB10_49 Depth=3
	s_mov_b32 s39, 0
	s_mov_b32 s37, exec_lo
	v_cmpx_ne_u32_e64 v18, v10
	s_cbranch_execz .LBB10_43
; %bb.55:                               ;   in Loop: Header=BB10_49 Depth=3
	v_add_nc_u32_e32 v16, 3, v17
	s_mov_b32 s40, -1
	s_mov_b32 s39, -1
	s_mov_b32 s38, exec_lo
	s_delay_alu instid0(VALU_DEP_1) | instskip(NEXT) | instid1(VALU_DEP_1)
	v_and_b32_e32 v16, 0x1ff, v16
	v_lshl_add_u32 v17, v16, 2, v5
	ds_load_b32 v18, v17
                                        ; implicit-def: $vgpr17
	s_wait_dscnt 0x0
	v_cmpx_ne_u32_e32 -1, v18
	s_cbranch_execz .LBB10_42
; %bb.56:                               ;   in Loop: Header=BB10_49 Depth=3
	s_mov_b32 s39, 0
	s_mov_b32 s41, exec_lo
                                        ; implicit-def: $vgpr17
	v_cmpx_ne_u32_e64 v18, v10
	s_cbranch_execz .LBB10_41
; %bb.57:                               ;   in Loop: Header=BB10_49 Depth=3
	v_dual_add_nc_u32 v11, -4, v11 :: v_dual_add_nc_u32 v17, 1, v16
	s_mov_b32 s39, exec_lo
	s_delay_alu instid0(VALU_DEP_1)
	v_cmp_eq_u32_e32 vcc_lo, 0, v11
	s_or_not1_b32 s40, vcc_lo, exec_lo
	s_branch .LBB10_41
.LBB10_58:                              ;   in Loop: Header=BB10_40 Depth=2
	s_or_b32 exec_lo, exec_lo, s24
	s_xor_b32 s24, s25, -1
	s_delay_alu instid0(SALU_CYCLE_1) | instskip(NEXT) | instid1(SALU_CYCLE_1)
	s_and_saveexec_b32 s25, s24
	s_xor_b32 s24, exec_lo, s25
	s_cbranch_execz .LBB10_39
; %bb.59:                               ;   in Loop: Header=BB10_40 Depth=2
	v_lshl_add_u32 v10, v16, 2, v13
	ds_load_b32 v16, v10
	v_lshl_add_u64 v[10:11], v[8:9], 2, s[8:9]
	global_load_b32 v9, v[10:11], off
	s_wait_dscnt 0x0
	global_load_b32 v17, v16, s[8:9] scale_offset
	s_wait_loadcnt 0x0
	v_fma_f32 v9, -v15, v9, v17
	global_store_b32 v16, v9, s[8:9] scale_offset
	s_branch .LBB10_39
.LBB10_60:
	s_or_b32 exec_lo, exec_lo, s2
	s_mov_b32 s5, -1
	s_mov_b32 s4, exec_lo
	s_wait_storecnt 0x0
	v_cmpx_lt_i32_e32 -1, v4
	s_cbranch_execz .LBB10_76
; %bb.61:
	global_load_b32 v8, v4, s[8:9] scale_offset
	v_cmp_eq_u32_e64 s2, 0, v12
	s_wait_loadcnt 0x0
	v_cmp_gt_f32_e32 vcc_lo, 0, v8
	v_cndmask_b32_e64 v5, v8, -v8, vcc_lo
	s_and_not1_b32 vcc_lo, exec_lo, s29
	s_delay_alu instid0(VALU_DEP_1)
	v_cvt_f64_f32_e32 v[6:7], v5
	s_cbranch_vccnz .LBB10_65
; %bb.62:
	v_cvt_f64_f32_e32 v[10:11], s30
	s_cmp_eq_u64 s[20:21], 8
	s_cselect_b32 vcc_lo, -1, 0
	s_delay_alu instid0(VALU_DEP_1) | instskip(NEXT) | instid1(VALU_DEP_1)
	v_dual_cndmask_b32 v3, v11, v3 :: v_dual_cndmask_b32 v2, v10, v2
	v_cmp_ge_f64_e32 vcc_lo, v[2:3], v[6:7]
	s_and_b32 s6, s2, vcc_lo
	s_delay_alu instid0(SALU_CYCLE_1)
	s_and_saveexec_b32 s5, s6
	s_cbranch_execz .LBB10_64
; %bb.63:
	v_dual_mov_b32 v5, 0 :: v_dual_mov_b32 v9, s3
	s_delay_alu instid0(VALU_DEP_1)
	v_lshl_add_u64 v[2:3], v[4:5], 2, s[8:9]
	global_store_b32 v[2:3], v9, off
	global_wb scope:SCOPE_DEV
	s_wait_storecnt 0x0
	global_inv scope:SCOPE_DEV
.LBB10_64:
	s_wait_xcnt 0x0
	s_or_b32 exec_lo, exec_lo, s5
	s_mov_b32 s5, 0
.LBB10_65:
	s_delay_alu instid0(SALU_CYCLE_1)
	s_and_not1_b32 vcc_lo, exec_lo, s5
	s_cbranch_vccnz .LBB10_76
; %bb.66:
	s_load_b64 s[0:1], s[0:1], 0x48
	v_add_nc_u32_e32 v2, s28, v0
	s_wait_kmcnt 0x0
	s_delay_alu instid0(VALU_DEP_2) | instskip(SKIP_1) | instid1(SALU_CYCLE_1)
	v_cmp_ge_f64_e32 vcc_lo, s[0:1], v[6:7]
	s_and_b32 s1, s2, vcc_lo
	s_and_saveexec_b32 s0, s1
	s_cbranch_execz .LBB10_71
; %bb.67:
	s_mov_b32 s3, exec_lo
	s_brev_b32 s1, -2
.LBB10_68:                              ; =>This Inner Loop Header: Depth=1
	s_ctz_i32_b32 s5, s3
	s_delay_alu instid0(SALU_CYCLE_1) | instskip(SKIP_1) | instid1(SALU_CYCLE_1)
	v_readlane_b32 s6, v2, s5
	s_lshl_b32 s5, 1, s5
	s_and_not1_b32 s3, s3, s5
	s_min_i32 s1, s1, s6
	s_cmp_lg_u32 s3, 0
	s_cbranch_scc1 .LBB10_68
; %bb.69:
	v_mbcnt_lo_u32_b32 v3, exec_lo, 0
	s_mov_b32 s3, exec_lo
	s_delay_alu instid0(VALU_DEP_1)
	v_cmpx_eq_u32_e32 0, v3
	s_xor_b32 s3, exec_lo, s3
	s_cbranch_execz .LBB10_71
; %bb.70:
	v_dual_mov_b32 v3, 0 :: v_dual_mov_b32 v4, s1
	global_atomic_min_i32 v3, v4, s[18:19] scope:SCOPE_DEV
.LBB10_71:
	s_wait_xcnt 0x0
	s_or_b32 exec_lo, exec_lo, s0
	v_cmp_eq_f32_e32 vcc_lo, 0, v8
	s_and_b32 s0, s2, vcc_lo
	s_delay_alu instid0(SALU_CYCLE_1)
	s_and_b32 exec_lo, exec_lo, s0
	s_cbranch_execz .LBB10_76
; %bb.72:
	s_mov_b32 s1, exec_lo
	s_brev_b32 s0, -2
.LBB10_73:                              ; =>This Inner Loop Header: Depth=1
	s_ctz_i32_b32 s2, s1
	s_delay_alu instid0(SALU_CYCLE_1) | instskip(SKIP_1) | instid1(SALU_CYCLE_1)
	v_readlane_b32 s3, v2, s2
	s_lshl_b32 s2, 1, s2
	s_and_not1_b32 s1, s1, s2
	s_min_i32 s0, s0, s3
	s_cmp_lg_u32 s1, 0
	s_cbranch_scc1 .LBB10_73
; %bb.74:
	v_mbcnt_lo_u32_b32 v2, exec_lo, 0
	s_mov_b32 s1, exec_lo
	s_delay_alu instid0(VALU_DEP_1)
	v_cmpx_eq_u32_e32 0, v2
	s_xor_b32 s1, exec_lo, s1
	s_cbranch_execz .LBB10_76
; %bb.75:
	v_dual_mov_b32 v2, 0 :: v_dual_mov_b32 v3, s0
	global_atomic_min_i32 v2, v3, s[16:17] scope:SCOPE_DEV
.LBB10_76:
	s_wait_xcnt 0x0
	s_or_b32 exec_lo, exec_lo, s4
	v_cmp_eq_u32_e32 vcc_lo, 0, v12
	global_wb scope:SCOPE_DEV
	s_wait_loadcnt 0x0
	s_wait_storecnt 0x0
	global_inv scope:SCOPE_DEV
	s_and_b32 exec_lo, exec_lo, vcc_lo
	s_cbranch_execz .LBB10_78
; %bb.77:
	v_lshl_add_u64 v[0:1], v[0:1], 2, s[12:13]
	v_mov_b32_e32 v2, 1
	global_wb scope:SCOPE_DEV
	s_wait_loadcnt 0x0
	s_wait_storecnt 0x0
	global_store_b32 v[0:1], v2, off scope:SCOPE_DEV
.LBB10_78:
	s_endpgm
	.section	.rodata,"a",@progbits
	.p2align	6, 0x0
	.amdhsa_kernel _ZN9rocsparseL12csrilu0_hashILj256ELj64ELj8EfEEviPKiS2_PT2_S2_PiS2_S5_S5_d21rocsparse_index_base_imNS_24const_host_device_scalarIfEENS7_IdEENS7_IS3_EEb
		.amdhsa_group_segment_fixed_size 16384
		.amdhsa_private_segment_fixed_size 0
		.amdhsa_kernarg_size 124
		.amdhsa_user_sgpr_count 2
		.amdhsa_user_sgpr_dispatch_ptr 0
		.amdhsa_user_sgpr_queue_ptr 0
		.amdhsa_user_sgpr_kernarg_segment_ptr 1
		.amdhsa_user_sgpr_dispatch_id 0
		.amdhsa_user_sgpr_kernarg_preload_length 0
		.amdhsa_user_sgpr_kernarg_preload_offset 0
		.amdhsa_user_sgpr_private_segment_size 0
		.amdhsa_wavefront_size32 1
		.amdhsa_uses_dynamic_stack 0
		.amdhsa_enable_private_segment 0
		.amdhsa_system_sgpr_workgroup_id_x 1
		.amdhsa_system_sgpr_workgroup_id_y 0
		.amdhsa_system_sgpr_workgroup_id_z 0
		.amdhsa_system_sgpr_workgroup_info 0
		.amdhsa_system_vgpr_workitem_id 0
		.amdhsa_next_free_vgpr 21
		.amdhsa_next_free_sgpr 42
		.amdhsa_named_barrier_count 0
		.amdhsa_reserve_vcc 1
		.amdhsa_float_round_mode_32 0
		.amdhsa_float_round_mode_16_64 0
		.amdhsa_float_denorm_mode_32 3
		.amdhsa_float_denorm_mode_16_64 3
		.amdhsa_fp16_overflow 0
		.amdhsa_memory_ordered 1
		.amdhsa_forward_progress 1
		.amdhsa_inst_pref_size 23
		.amdhsa_round_robin_scheduling 0
		.amdhsa_exception_fp_ieee_invalid_op 0
		.amdhsa_exception_fp_denorm_src 0
		.amdhsa_exception_fp_ieee_div_zero 0
		.amdhsa_exception_fp_ieee_overflow 0
		.amdhsa_exception_fp_ieee_underflow 0
		.amdhsa_exception_fp_ieee_inexact 0
		.amdhsa_exception_int_div_zero 0
	.end_amdhsa_kernel
	.section	.text._ZN9rocsparseL12csrilu0_hashILj256ELj64ELj8EfEEviPKiS2_PT2_S2_PiS2_S5_S5_d21rocsparse_index_base_imNS_24const_host_device_scalarIfEENS7_IdEENS7_IS3_EEb,"axG",@progbits,_ZN9rocsparseL12csrilu0_hashILj256ELj64ELj8EfEEviPKiS2_PT2_S2_PiS2_S5_S5_d21rocsparse_index_base_imNS_24const_host_device_scalarIfEENS7_IdEENS7_IS3_EEb,comdat
.Lfunc_end10:
	.size	_ZN9rocsparseL12csrilu0_hashILj256ELj64ELj8EfEEviPKiS2_PT2_S2_PiS2_S5_S5_d21rocsparse_index_base_imNS_24const_host_device_scalarIfEENS7_IdEENS7_IS3_EEb, .Lfunc_end10-_ZN9rocsparseL12csrilu0_hashILj256ELj64ELj8EfEEviPKiS2_PT2_S2_PiS2_S5_S5_d21rocsparse_index_base_imNS_24const_host_device_scalarIfEENS7_IdEENS7_IS3_EEb
                                        ; -- End function
	.set _ZN9rocsparseL12csrilu0_hashILj256ELj64ELj8EfEEviPKiS2_PT2_S2_PiS2_S5_S5_d21rocsparse_index_base_imNS_24const_host_device_scalarIfEENS7_IdEENS7_IS3_EEb.num_vgpr, 21
	.set _ZN9rocsparseL12csrilu0_hashILj256ELj64ELj8EfEEviPKiS2_PT2_S2_PiS2_S5_S5_d21rocsparse_index_base_imNS_24const_host_device_scalarIfEENS7_IdEENS7_IS3_EEb.num_agpr, 0
	.set _ZN9rocsparseL12csrilu0_hashILj256ELj64ELj8EfEEviPKiS2_PT2_S2_PiS2_S5_S5_d21rocsparse_index_base_imNS_24const_host_device_scalarIfEENS7_IdEENS7_IS3_EEb.numbered_sgpr, 42
	.set _ZN9rocsparseL12csrilu0_hashILj256ELj64ELj8EfEEviPKiS2_PT2_S2_PiS2_S5_S5_d21rocsparse_index_base_imNS_24const_host_device_scalarIfEENS7_IdEENS7_IS3_EEb.num_named_barrier, 0
	.set _ZN9rocsparseL12csrilu0_hashILj256ELj64ELj8EfEEviPKiS2_PT2_S2_PiS2_S5_S5_d21rocsparse_index_base_imNS_24const_host_device_scalarIfEENS7_IdEENS7_IS3_EEb.private_seg_size, 0
	.set _ZN9rocsparseL12csrilu0_hashILj256ELj64ELj8EfEEviPKiS2_PT2_S2_PiS2_S5_S5_d21rocsparse_index_base_imNS_24const_host_device_scalarIfEENS7_IdEENS7_IS3_EEb.uses_vcc, 1
	.set _ZN9rocsparseL12csrilu0_hashILj256ELj64ELj8EfEEviPKiS2_PT2_S2_PiS2_S5_S5_d21rocsparse_index_base_imNS_24const_host_device_scalarIfEENS7_IdEENS7_IS3_EEb.uses_flat_scratch, 0
	.set _ZN9rocsparseL12csrilu0_hashILj256ELj64ELj8EfEEviPKiS2_PT2_S2_PiS2_S5_S5_d21rocsparse_index_base_imNS_24const_host_device_scalarIfEENS7_IdEENS7_IS3_EEb.has_dyn_sized_stack, 0
	.set _ZN9rocsparseL12csrilu0_hashILj256ELj64ELj8EfEEviPKiS2_PT2_S2_PiS2_S5_S5_d21rocsparse_index_base_imNS_24const_host_device_scalarIfEENS7_IdEENS7_IS3_EEb.has_recursion, 0
	.set _ZN9rocsparseL12csrilu0_hashILj256ELj64ELj8EfEEviPKiS2_PT2_S2_PiS2_S5_S5_d21rocsparse_index_base_imNS_24const_host_device_scalarIfEENS7_IdEENS7_IS3_EEb.has_indirect_call, 0
	.section	.AMDGPU.csdata,"",@progbits
; Kernel info:
; codeLenInByte = 2820
; TotalNumSgprs: 44
; NumVgprs: 21
; ScratchSize: 0
; MemoryBound: 0
; FloatMode: 240
; IeeeMode: 1
; LDSByteSize: 16384 bytes/workgroup (compile time only)
; SGPRBlocks: 0
; VGPRBlocks: 1
; NumSGPRsForWavesPerEU: 44
; NumVGPRsForWavesPerEU: 21
; NamedBarCnt: 0
; Occupancy: 16
; WaveLimiterHint : 1
; COMPUTE_PGM_RSRC2:SCRATCH_EN: 0
; COMPUTE_PGM_RSRC2:USER_SGPR: 2
; COMPUTE_PGM_RSRC2:TRAP_HANDLER: 0
; COMPUTE_PGM_RSRC2:TGID_X_EN: 1
; COMPUTE_PGM_RSRC2:TGID_Y_EN: 0
; COMPUTE_PGM_RSRC2:TGID_Z_EN: 0
; COMPUTE_PGM_RSRC2:TIDIG_COMP_CNT: 0
	.section	.text._ZN9rocsparseL12csrilu0_hashILj256ELj64ELj16EfEEviPKiS2_PT2_S2_PiS2_S5_S5_d21rocsparse_index_base_imNS_24const_host_device_scalarIfEENS7_IdEENS7_IS3_EEb,"axG",@progbits,_ZN9rocsparseL12csrilu0_hashILj256ELj64ELj16EfEEviPKiS2_PT2_S2_PiS2_S5_S5_d21rocsparse_index_base_imNS_24const_host_device_scalarIfEENS7_IdEENS7_IS3_EEb,comdat
	.globl	_ZN9rocsparseL12csrilu0_hashILj256ELj64ELj16EfEEviPKiS2_PT2_S2_PiS2_S5_S5_d21rocsparse_index_base_imNS_24const_host_device_scalarIfEENS7_IdEENS7_IS3_EEb ; -- Begin function _ZN9rocsparseL12csrilu0_hashILj256ELj64ELj16EfEEviPKiS2_PT2_S2_PiS2_S5_S5_d21rocsparse_index_base_imNS_24const_host_device_scalarIfEENS7_IdEENS7_IS3_EEb
	.p2align	8
	.type	_ZN9rocsparseL12csrilu0_hashILj256ELj64ELj16EfEEviPKiS2_PT2_S2_PiS2_S5_S5_d21rocsparse_index_base_imNS_24const_host_device_scalarIfEENS7_IdEENS7_IS3_EEb,@function
_ZN9rocsparseL12csrilu0_hashILj256ELj64ELj16EfEEviPKiS2_PT2_S2_PiS2_S5_S5_d21rocsparse_index_base_imNS_24const_host_device_scalarIfEENS7_IdEENS7_IS3_EEb: ; @_ZN9rocsparseL12csrilu0_hashILj256ELj64ELj16EfEEviPKiS2_PT2_S2_PiS2_S5_S5_d21rocsparse_index_base_imNS_24const_host_device_scalarIfEENS7_IdEENS7_IS3_EEb
; %bb.0:
	s_clause 0x2
	s_load_b32 s2, s[0:1], 0x78
	s_load_b64 s[28:29], s[0:1], 0x50
	s_load_b256 s[20:27], s[0:1], 0x58
	s_wait_kmcnt 0x0
	s_bitcmp1_b32 s2, 0
	s_cselect_b32 s2, -1, 0
	s_cmp_eq_u32 s29, 0
	s_cselect_b32 s4, -1, 0
	s_cmp_lg_u32 s29, 0
	s_cselect_b32 s29, -1, 0
	s_or_b32 s6, s4, s2
	s_delay_alu instid0(SALU_CYCLE_1)
	s_xor_b32 s5, s6, -1
	s_and_b32 s2, s4, exec_lo
	s_cselect_b32 s3, 0, s25
	s_cselect_b32 s2, 0, s24
	;; [unrolled: 1-line block ×3, first 2 shown]
	s_and_b32 vcc_lo, exec_lo, s6
	s_cbranch_vccnz .LBB11_2
; %bb.1:
	s_load_b32 s30, s[22:23], 0x0
	s_mov_b64 s[2:3], s[24:25]
.LBB11_2:
	s_delay_alu instid0(SALU_CYCLE_1)
	v_mov_b64_e32 v[4:5], s[2:3]
	v_cndmask_b32_e64 v1, 0, 1, s5
	s_and_not1_b32 vcc_lo, exec_lo, s5
	s_cbranch_vccnz .LBB11_4
; %bb.3:
	v_mov_b32_e32 v2, 0
	flat_load_b64 v[4:5], v2, s[24:25]
.LBB11_4:
	s_delay_alu instid0(VALU_DEP_1)
	v_cmp_ne_u32_e32 vcc_lo, 1, v1
	s_and_b32 s2, s4, exec_lo
	s_cselect_b32 s3, 0, s26
	s_mov_b32 s2, 0
	s_cbranch_vccnz .LBB11_6
; %bb.5:
	s_load_b32 s3, s[26:27], 0x0
.LBB11_6:
	v_dual_lshrrev_b32 v1, 6, v0 :: v_dual_bitop2_b32 v12, 63, v0 bitop3:0x40
	s_delay_alu instid0(VALU_DEP_1) | instskip(SKIP_2) | instid1(VALU_DEP_2)
	v_dual_lshlrev_b32 v3, 12, v1 :: v_dual_lshlrev_b32 v6, 2, v12
	s_wait_xcnt 0x0
	v_or_b32_e32 v2, 0xffffffc0, v12
	v_or3_b32 v3, v3, v6, 0x4000
	v_mov_b32_e32 v6, -1
.LBB11_7:                               ; =>This Inner Loop Header: Depth=1
	s_delay_alu instid0(VALU_DEP_3) | instskip(SKIP_4) | instid1(SALU_CYCLE_1)
	v_add_nc_u32_e32 v2, 64, v2
	ds_store_b32 v3, v6
	v_add_nc_u32_e32 v3, 0x100, v3
	v_cmp_lt_u32_e32 vcc_lo, 0x3bf, v2
	s_or_b32 s2, vcc_lo, s2
	s_and_not1_b32 exec_lo, exec_lo, s2
	s_cbranch_execnz .LBB11_7
; %bb.8:
	s_or_b32 exec_lo, exec_lo, s2
	s_load_b32 s2, s[0:1], 0x0
	s_bfe_u32 s4, ttmp6, 0x4000c
	s_and_b32 s5, ttmp6, 15
	s_add_co_i32 s4, s4, 1
	s_getreg_b32 s6, hwreg(HW_REG_IB_STS2, 6, 4)
	s_mul_i32 s4, ttmp9, s4
	s_wait_loadcnt_dscnt 0x0
	s_add_co_i32 s5, s5, s4
	s_cmp_eq_u32 s6, 0
	s_cselect_b32 s4, ttmp9, s5
	s_delay_alu instid0(SALU_CYCLE_1) | instskip(NEXT) | instid1(SALU_CYCLE_1)
	s_lshl_b32 s4, s4, 2
	v_and_or_b32 v1, 0x3fffffc, s4, v1
	s_wait_kmcnt 0x0
	s_delay_alu instid0(VALU_DEP_1)
	v_cmp_gt_i32_e32 vcc_lo, s2, v1
	s_and_saveexec_b32 s2, vcc_lo
	s_cbranch_execz .LBB11_80
; %bb.9:
	s_load_b512 s[4:19], s[0:1], 0x8
	s_mov_b32 s2, exec_lo
	s_wait_kmcnt 0x0
	global_load_b32 v2, v1, s[14:15] scale_offset
	s_wait_xcnt 0x0
	v_lshlrev_b32_e32 v1, 6, v0
	s_delay_alu instid0(VALU_DEP_1) | instskip(NEXT) | instid1(VALU_DEP_1)
	v_and_b32_e32 v7, 0x3000, v1
	v_or_b32_e32 v13, 0x4000, v7
	s_wait_loadcnt 0x0
	v_ashrrev_i32_e32 v3, 31, v2
	s_delay_alu instid0(VALU_DEP_1)
	v_lshl_add_u64 v[8:9], v[2:3], 2, s[4:5]
	global_load_b64 v[10:11], v[8:9], off
	global_load_b32 v6, v2, s[10:11] scale_offset
	s_wait_loadcnt 0x1
	v_subrev_nc_u32_e32 v0, s28, v10
	v_subrev_nc_u32_e32 v1, s28, v11
	s_delay_alu instid0(VALU_DEP_2) | instskip(SKIP_1) | instid1(VALU_DEP_1)
	v_add_nc_u32_e32 v8, v0, v12
	s_wait_xcnt 0x0
	v_cmpx_lt_i32_e64 v8, v1
	s_cbranch_execz .LBB11_32
; %bb.10:
	v_mov_b32_e32 v9, -1
	s_mov_b32 s14, 0
	s_branch .LBB11_12
.LBB11_11:                              ;   in Loop: Header=BB11_12 Depth=1
	s_or_b32 exec_lo, exec_lo, s15
	v_add_nc_u32_e32 v8, 64, v8
	s_delay_alu instid0(VALU_DEP_1) | instskip(SKIP_1) | instid1(SALU_CYCLE_1)
	v_cmp_ge_i32_e32 vcc_lo, v8, v1
	s_or_b32 s14, vcc_lo, s14
	s_and_not1_b32 exec_lo, exec_lo, s14
	s_cbranch_execz .LBB11_32
.LBB11_12:                              ; =>This Loop Header: Depth=1
                                        ;     Child Loop BB11_21 Depth 2
	global_load_b32 v10, v8, s[6:7] scale_offset
	v_mov_b32_e32 v11, 0x400
	s_mov_b32 s15, 0
                                        ; implicit-def: $sgpr22
                                        ; implicit-def: $sgpr23
                                        ; implicit-def: $sgpr24
	s_wait_loadcnt 0x0
	v_mul_lo_u32 v15, 0x67, v10
	s_branch .LBB11_21
.LBB11_13:                              ;   in Loop: Header=BB11_21 Depth=2
	s_or_b32 exec_lo, exec_lo, s38
	s_delay_alu instid0(SALU_CYCLE_1)
	s_or_not1_b32 s36, s36, exec_lo
	s_or_not1_b32 s37, s37, exec_lo
.LBB11_14:                              ;   in Loop: Header=BB11_21 Depth=2
	s_or_b32 exec_lo, exec_lo, s35
	s_delay_alu instid0(SALU_CYCLE_1)
	s_and_b32 s36, s36, exec_lo
	s_or_not1_b32 s35, s37, exec_lo
.LBB11_15:                              ;   in Loop: Header=BB11_21 Depth=2
	s_or_b32 exec_lo, exec_lo, s34
	s_delay_alu instid0(SALU_CYCLE_1)
	s_or_not1_b32 s34, s36, exec_lo
	s_or_not1_b32 s35, s35, exec_lo
.LBB11_16:                              ;   in Loop: Header=BB11_21 Depth=2
	s_or_b32 exec_lo, exec_lo, s33
	s_delay_alu instid0(SALU_CYCLE_1)
	s_and_b32 s34, s34, exec_lo
	s_or_not1_b32 s33, s35, exec_lo
.LBB11_17:                              ;   in Loop: Header=BB11_21 Depth=2
	s_or_b32 exec_lo, exec_lo, s31
	s_delay_alu instid0(SALU_CYCLE_1)
	s_or_not1_b32 s31, s34, exec_lo
	s_or_not1_b32 s33, s33, exec_lo
.LBB11_18:                              ;   in Loop: Header=BB11_21 Depth=2
	s_or_b32 exec_lo, exec_lo, s27
	s_delay_alu instid0(SALU_CYCLE_1)
	s_and_b32 s31, s31, exec_lo
	s_or_not1_b32 s27, s33, exec_lo
.LBB11_19:                              ;   in Loop: Header=BB11_21 Depth=2
	s_or_b32 exec_lo, exec_lo, s26
	s_delay_alu instid0(SALU_CYCLE_1)
	s_and_not1_b32 s24, s24, exec_lo
	s_and_b32 s26, s31, exec_lo
	s_and_not1_b32 s23, s23, exec_lo
	s_and_b32 s27, s27, exec_lo
	s_or_b32 s24, s24, s26
	s_or_b32 s23, s23, s27
.LBB11_20:                              ;   in Loop: Header=BB11_21 Depth=2
	s_or_b32 exec_lo, exec_lo, s25
	s_delay_alu instid0(SALU_CYCLE_1) | instskip(NEXT) | instid1(SALU_CYCLE_1)
	s_and_b32 s25, exec_lo, s23
	s_or_b32 s15, s25, s15
	s_and_not1_b32 s22, s22, exec_lo
	s_and_b32 s25, s24, exec_lo
	s_delay_alu instid0(SALU_CYCLE_1)
	s_or_b32 s22, s22, s25
	s_and_not1_b32 exec_lo, exec_lo, s15
	s_cbranch_execz .LBB11_30
.LBB11_21:                              ;   Parent Loop BB11_12 Depth=1
                                        ; =>  This Inner Loop Header: Depth=2
	s_delay_alu instid0(VALU_DEP_1) | instskip(SKIP_3) | instid1(VALU_DEP_1)
	v_and_b32_e32 v14, 0x3ff, v15
	s_or_b32 s24, s24, exec_lo
	s_or_b32 s23, s23, exec_lo
	s_mov_b32 s25, exec_lo
	v_lshl_add_u32 v16, v14, 2, v13
	ds_load_b32 v17, v16
	s_wait_dscnt 0x0
	s_wait_xcnt 0x0
	v_cmpx_ne_u32_e64 v17, v10
	s_cbranch_execz .LBB11_20
; %bb.22:                               ;   in Loop: Header=BB11_21 Depth=2
	ds_cmpstore_rtn_b32 v16, v16, v10, v9
	s_mov_b32 s27, -1
	s_mov_b32 s31, 0
	s_mov_b32 s26, exec_lo
	s_wait_dscnt 0x0
	v_cmpx_ne_u32_e32 -1, v16
	s_cbranch_execz .LBB11_19
; %bb.23:                               ;   in Loop: Header=BB11_21 Depth=2
	v_add_nc_u32_e32 v14, 1, v15
	s_mov_b32 s33, -1
	s_mov_b32 s31, -1
	s_mov_b32 s27, exec_lo
	s_delay_alu instid0(VALU_DEP_1) | instskip(NEXT) | instid1(VALU_DEP_1)
	v_and_b32_e32 v14, 0x3ff, v14
	v_lshl_add_u32 v16, v14, 2, v13
	ds_load_b32 v17, v16
	s_wait_dscnt 0x0
	v_cmpx_ne_u32_e64 v17, v10
	s_cbranch_execz .LBB11_18
; %bb.24:                               ;   in Loop: Header=BB11_21 Depth=2
	ds_cmpstore_rtn_b32 v16, v16, v10, v9
	s_mov_b32 s34, 0
	s_mov_b32 s31, exec_lo
	s_wait_dscnt 0x0
	v_cmpx_ne_u32_e32 -1, v16
	s_cbranch_execz .LBB11_17
; %bb.25:                               ;   in Loop: Header=BB11_21 Depth=2
	v_add_nc_u32_e32 v14, 2, v15
	s_mov_b32 s35, -1
	s_mov_b32 s34, -1
	s_mov_b32 s33, exec_lo
	s_delay_alu instid0(VALU_DEP_1) | instskip(NEXT) | instid1(VALU_DEP_1)
	v_and_b32_e32 v14, 0x3ff, v14
	v_lshl_add_u32 v16, v14, 2, v13
	ds_load_b32 v17, v16
	s_wait_dscnt 0x0
	v_cmpx_ne_u32_e64 v17, v10
	s_cbranch_execz .LBB11_16
; %bb.26:                               ;   in Loop: Header=BB11_21 Depth=2
	ds_cmpstore_rtn_b32 v16, v16, v10, v9
	s_mov_b32 s36, 0
	s_mov_b32 s34, exec_lo
	s_wait_dscnt 0x0
	v_cmpx_ne_u32_e32 -1, v16
	s_cbranch_execz .LBB11_15
; %bb.27:                               ;   in Loop: Header=BB11_21 Depth=2
	v_add_nc_u32_e32 v14, 3, v15
	s_mov_b32 s37, -1
	s_mov_b32 s36, -1
	s_delay_alu instid0(VALU_DEP_1) | instskip(NEXT) | instid1(VALU_DEP_1)
	v_and_b32_e32 v14, 0x3ff, v14
	v_lshl_add_u32 v16, v14, 2, v13
	ds_load_b32 v15, v16
	s_wait_dscnt 0x0
	v_cmp_ne_u32_e32 vcc_lo, v15, v10
                                        ; implicit-def: $vgpr15
	s_and_saveexec_b32 s35, vcc_lo
	s_cbranch_execz .LBB11_14
; %bb.28:                               ;   in Loop: Header=BB11_21 Depth=2
	ds_cmpstore_rtn_b32 v15, v16, v10, v9
	s_mov_b32 s36, 0
	s_wait_dscnt 0x0
	v_cmp_ne_u32_e32 vcc_lo, -1, v15
                                        ; implicit-def: $vgpr15
	s_and_saveexec_b32 s38, vcc_lo
	s_cbranch_execz .LBB11_13
; %bb.29:                               ;   in Loop: Header=BB11_21 Depth=2
	v_dual_add_nc_u32 v11, -4, v11 :: v_dual_add_nc_u32 v15, 1, v14
	s_mov_b32 s36, exec_lo
	s_delay_alu instid0(VALU_DEP_1)
	v_cmp_eq_u32_e32 vcc_lo, 0, v11
	s_or_not1_b32 s37, vcc_lo, exec_lo
	s_branch .LBB11_13
.LBB11_30:                              ;   in Loop: Header=BB11_12 Depth=1
	s_or_b32 exec_lo, exec_lo, s15
	s_xor_b32 s15, s22, -1
	s_delay_alu instid0(SALU_CYCLE_1) | instskip(NEXT) | instid1(SALU_CYCLE_1)
	s_and_saveexec_b32 s22, s15
	s_xor_b32 s15, exec_lo, s22
	s_cbranch_execz .LBB11_11
; %bb.31:                               ;   in Loop: Header=BB11_12 Depth=1
	v_lshl_add_u32 v10, v14, 2, v7
	ds_store_b32 v10, v8
	s_branch .LBB11_11
.LBB11_32:
	s_or_b32 exec_lo, exec_lo, s2
	s_delay_alu instid0(SALU_CYCLE_1)
	s_mov_b32 s2, exec_lo
	s_wait_loadcnt_dscnt 0x0
	v_cmpx_lt_i32_e64 v0, v6
	s_cbranch_execz .LBB11_62
; %bb.33:
	v_add_nc_u32_e32 v14, 1, v12
	s_mov_b32 s14, 0
	s_branch .LBB11_36
.LBB11_34:                              ;   in Loop: Header=BB11_36 Depth=1
	s_or_b32 exec_lo, exec_lo, s22
	v_add_nc_u32_e32 v0, 1, v0
	s_delay_alu instid0(VALU_DEP_1)
	v_cmp_ge_i32_e32 vcc_lo, v0, v6
	s_or_not1_b32 s22, vcc_lo, exec_lo
.LBB11_35:                              ;   in Loop: Header=BB11_36 Depth=1
	s_or_b32 exec_lo, exec_lo, s15
	s_delay_alu instid0(SALU_CYCLE_1) | instskip(NEXT) | instid1(SALU_CYCLE_1)
	s_and_b32 s15, exec_lo, s22
	s_or_b32 s14, s15, s14
	s_delay_alu instid0(SALU_CYCLE_1)
	s_and_not1_b32 exec_lo, exec_lo, s14
	s_cbranch_execz .LBB11_62
.LBB11_36:                              ; =>This Loop Header: Depth=1
                                        ;     Child Loop BB11_37 Depth 2
                                        ;     Child Loop BB11_42 Depth 2
                                        ;       Child Loop BB11_51 Depth 3
	s_clause 0x1
	global_load_b32 v1, v0, s[6:7] scale_offset
	global_load_b32 v15, v0, s[8:9] scale_offset
	s_mov_b32 s15, 0
	s_wait_loadcnt 0x1
	v_subrev_nc_u32_e32 v8, s28, v1
	v_ashrrev_i32_e32 v1, 31, v0
	s_clause 0x1
	global_load_b32 v17, v8, s[4:5] offset:4 scale_offset
	global_load_b32 v16, v8, s[10:11] scale_offset
	v_ashrrev_i32_e32 v9, 31, v8
	v_lshl_add_u64 v[10:11], v[0:1], 2, s[8:9]
	s_wait_xcnt 0x0
	s_delay_alu instid0(VALU_DEP_2)
	v_lshl_add_u64 v[8:9], v[8:9], 2, s[12:13]
.LBB11_37:                              ;   Parent Loop BB11_36 Depth=1
                                        ; =>  This Inner Loop Header: Depth=2
	global_load_b32 v1, v[8:9], off scope:SCOPE_DEV
	s_wait_loadcnt 0x0
	v_cmp_ne_u32_e32 vcc_lo, 0, v1
	s_or_b32 s15, vcc_lo, s15
	s_wait_xcnt 0x0
	s_and_not1_b32 exec_lo, exec_lo, s15
	s_cbranch_execnz .LBB11_37
; %bb.38:                               ;   in Loop: Header=BB11_36 Depth=1
	s_or_b32 exec_lo, exec_lo, s15
	v_subrev_nc_u32_e32 v1, s28, v17
	v_cmp_eq_u32_e32 vcc_lo, -1, v16
	global_inv scope:SCOPE_DEV
	s_mov_b32 s22, -1
	s_mov_b32 s15, exec_lo
	v_add_nc_u32_e32 v8, -1, v1
	s_delay_alu instid0(VALU_DEP_1)
	v_cndmask_b32_e32 v8, v16, v8, vcc_lo
	global_load_b32 v9, v8, s[8:9] scale_offset
	s_wait_loadcnt 0x0
	s_wait_xcnt 0x0
	v_cmpx_neq_f32_e32 0, v9
	s_cbranch_execz .LBB11_35
; %bb.39:                               ;   in Loop: Header=BB11_36 Depth=1
	v_div_scale_f32 v16, null, v9, v9, v15
	s_mov_b32 s22, exec_lo
	v_add_nc_u32_e32 v8, v14, v8
	v_rcp_f32_e32 v17, v16
	v_nop
	s_delay_alu instid0(TRANS32_DEP_1) | instskip(NEXT) | instid1(VALU_DEP_1)
	v_fma_f32 v18, -v16, v17, 1.0
	v_fmac_f32_e32 v17, v18, v17
	v_div_scale_f32 v18, vcc_lo, v15, v9, v15
	s_delay_alu instid0(VALU_DEP_1) | instskip(NEXT) | instid1(VALU_DEP_1)
	v_mul_f32_e32 v19, v18, v17
	v_fma_f32 v20, -v16, v19, v18
	s_delay_alu instid0(VALU_DEP_1) | instskip(NEXT) | instid1(VALU_DEP_1)
	v_fmac_f32_e32 v19, v20, v17
	v_fma_f32 v16, -v16, v19, v18
	s_delay_alu instid0(VALU_DEP_1) | instskip(NEXT) | instid1(VALU_DEP_1)
	v_div_fmas_f32 v16, v16, v17, v19
	v_div_fixup_f32 v15, v16, v9, v15
	global_store_b32 v[10:11], v15, off
	s_wait_xcnt 0x0
	v_cmpx_lt_i32_e64 v8, v1
	s_cbranch_execz .LBB11_34
; %bb.40:                               ;   in Loop: Header=BB11_36 Depth=1
	s_mov_b32 s23, 0
	s_branch .LBB11_42
.LBB11_41:                              ;   in Loop: Header=BB11_42 Depth=2
	s_wait_xcnt 0x0
	s_or_b32 exec_lo, exec_lo, s24
	v_add_nc_u32_e32 v8, 64, v8
	s_delay_alu instid0(VALU_DEP_1) | instskip(SKIP_1) | instid1(SALU_CYCLE_1)
	v_cmp_ge_i32_e32 vcc_lo, v8, v1
	s_or_b32 s23, vcc_lo, s23
	s_and_not1_b32 exec_lo, exec_lo, s23
	s_cbranch_execz .LBB11_34
.LBB11_42:                              ;   Parent Loop BB11_36 Depth=1
                                        ; =>  This Loop Header: Depth=2
                                        ;       Child Loop BB11_51 Depth 3
	global_load_b32 v10, v8, s[6:7] scale_offset
	v_ashrrev_i32_e32 v9, 31, v8
	v_mov_b32_e32 v11, 0x400
	s_mov_b32 s24, 0
                                        ; implicit-def: $sgpr25
                                        ; implicit-def: $sgpr26
                                        ; implicit-def: $sgpr27
	s_wait_loadcnt 0x0
	v_mul_lo_u32 v17, 0x67, v10
	s_branch .LBB11_51
.LBB11_43:                              ;   in Loop: Header=BB11_51 Depth=3
	s_or_b32 exec_lo, exec_lo, s41
	s_delay_alu instid0(SALU_CYCLE_1)
	s_or_not1_b32 s39, s39, exec_lo
	s_or_not1_b32 s40, s40, exec_lo
.LBB11_44:                              ;   in Loop: Header=BB11_51 Depth=3
	s_or_b32 exec_lo, exec_lo, s38
	s_delay_alu instid0(SALU_CYCLE_1)
	s_and_b32 s39, s39, exec_lo
	s_or_not1_b32 s38, s40, exec_lo
.LBB11_45:                              ;   in Loop: Header=BB11_51 Depth=3
	s_or_b32 exec_lo, exec_lo, s37
	s_delay_alu instid0(SALU_CYCLE_1)
	s_or_not1_b32 s37, s39, exec_lo
	s_or_not1_b32 s38, s38, exec_lo
.LBB11_46:                              ;   in Loop: Header=BB11_51 Depth=3
	s_or_b32 exec_lo, exec_lo, s36
	s_delay_alu instid0(SALU_CYCLE_1)
	s_and_b32 s37, s37, exec_lo
	s_or_not1_b32 s36, s38, exec_lo
.LBB11_47:                              ;   in Loop: Header=BB11_51 Depth=3
	s_or_b32 exec_lo, exec_lo, s35
	s_delay_alu instid0(SALU_CYCLE_1)
	s_or_not1_b32 s35, s37, exec_lo
	s_or_not1_b32 s36, s36, exec_lo
.LBB11_48:                              ;   in Loop: Header=BB11_51 Depth=3
	s_or_b32 exec_lo, exec_lo, s34
	s_delay_alu instid0(SALU_CYCLE_1)
	s_and_b32 s35, s35, exec_lo
	s_or_not1_b32 s34, s36, exec_lo
.LBB11_49:                              ;   in Loop: Header=BB11_51 Depth=3
	s_or_b32 exec_lo, exec_lo, s33
	s_delay_alu instid0(SALU_CYCLE_1)
	s_and_not1_b32 s27, s27, exec_lo
	s_and_b32 s33, s35, exec_lo
	s_and_not1_b32 s26, s26, exec_lo
	s_and_b32 s34, s34, exec_lo
	s_or_b32 s27, s27, s33
	s_or_b32 s26, s26, s34
.LBB11_50:                              ;   in Loop: Header=BB11_51 Depth=3
	s_or_b32 exec_lo, exec_lo, s31
	s_delay_alu instid0(SALU_CYCLE_1) | instskip(NEXT) | instid1(SALU_CYCLE_1)
	s_and_b32 s31, exec_lo, s26
	s_or_b32 s24, s31, s24
	s_and_not1_b32 s25, s25, exec_lo
	s_and_b32 s31, s27, exec_lo
	s_delay_alu instid0(SALU_CYCLE_1)
	s_or_b32 s25, s25, s31
	s_and_not1_b32 exec_lo, exec_lo, s24
	s_cbranch_execz .LBB11_60
.LBB11_51:                              ;   Parent Loop BB11_36 Depth=1
                                        ;     Parent Loop BB11_42 Depth=2
                                        ; =>    This Inner Loop Header: Depth=3
	s_delay_alu instid0(VALU_DEP_1) | instskip(SKIP_3) | instid1(VALU_DEP_1)
	v_and_b32_e32 v16, 0x3ff, v17
	s_or_b32 s27, s27, exec_lo
	s_or_b32 s26, s26, exec_lo
	s_mov_b32 s31, exec_lo
	v_lshl_add_u32 v18, v16, 2, v13
	ds_load_b32 v18, v18
	s_wait_dscnt 0x0
	s_wait_xcnt 0x0
	v_cmpx_ne_u32_e32 -1, v18
	s_cbranch_execz .LBB11_50
; %bb.52:                               ;   in Loop: Header=BB11_51 Depth=3
	s_mov_b32 s34, -1
	s_mov_b32 s35, 0
	s_mov_b32 s33, exec_lo
	v_cmpx_ne_u32_e64 v18, v10
	s_cbranch_execz .LBB11_49
; %bb.53:                               ;   in Loop: Header=BB11_51 Depth=3
	v_add_nc_u32_e32 v16, 1, v17
	s_mov_b32 s36, -1
	s_mov_b32 s35, -1
	s_mov_b32 s34, exec_lo
	s_delay_alu instid0(VALU_DEP_1) | instskip(NEXT) | instid1(VALU_DEP_1)
	v_and_b32_e32 v16, 0x3ff, v16
	v_lshl_add_u32 v18, v16, 2, v13
	ds_load_b32 v18, v18
	s_wait_dscnt 0x0
	v_cmpx_ne_u32_e32 -1, v18
	s_cbranch_execz .LBB11_48
; %bb.54:                               ;   in Loop: Header=BB11_51 Depth=3
	s_mov_b32 s37, 0
	s_mov_b32 s35, exec_lo
	v_cmpx_ne_u32_e64 v18, v10
	s_cbranch_execz .LBB11_47
; %bb.55:                               ;   in Loop: Header=BB11_51 Depth=3
	v_add_nc_u32_e32 v16, 2, v17
	s_mov_b32 s38, -1
	s_mov_b32 s37, -1
	s_mov_b32 s36, exec_lo
	s_delay_alu instid0(VALU_DEP_1) | instskip(NEXT) | instid1(VALU_DEP_1)
	v_and_b32_e32 v16, 0x3ff, v16
	v_lshl_add_u32 v18, v16, 2, v13
	ds_load_b32 v18, v18
	s_wait_dscnt 0x0
	v_cmpx_ne_u32_e32 -1, v18
	s_cbranch_execz .LBB11_46
; %bb.56:                               ;   in Loop: Header=BB11_51 Depth=3
	s_mov_b32 s39, 0
	s_mov_b32 s37, exec_lo
	v_cmpx_ne_u32_e64 v18, v10
	s_cbranch_execz .LBB11_45
; %bb.57:                               ;   in Loop: Header=BB11_51 Depth=3
	v_add_nc_u32_e32 v16, 3, v17
	s_mov_b32 s40, -1
	s_mov_b32 s39, -1
	s_mov_b32 s38, exec_lo
	s_delay_alu instid0(VALU_DEP_1) | instskip(NEXT) | instid1(VALU_DEP_1)
	v_and_b32_e32 v16, 0x3ff, v16
	v_lshl_add_u32 v17, v16, 2, v13
	ds_load_b32 v18, v17
                                        ; implicit-def: $vgpr17
	s_wait_dscnt 0x0
	v_cmpx_ne_u32_e32 -1, v18
	s_cbranch_execz .LBB11_44
; %bb.58:                               ;   in Loop: Header=BB11_51 Depth=3
	s_mov_b32 s39, 0
	s_mov_b32 s41, exec_lo
                                        ; implicit-def: $vgpr17
	v_cmpx_ne_u32_e64 v18, v10
	s_cbranch_execz .LBB11_43
; %bb.59:                               ;   in Loop: Header=BB11_51 Depth=3
	v_dual_add_nc_u32 v11, -4, v11 :: v_dual_add_nc_u32 v17, 1, v16
	s_mov_b32 s39, exec_lo
	s_delay_alu instid0(VALU_DEP_1)
	v_cmp_eq_u32_e32 vcc_lo, 0, v11
	s_or_not1_b32 s40, vcc_lo, exec_lo
	s_branch .LBB11_43
.LBB11_60:                              ;   in Loop: Header=BB11_42 Depth=2
	s_or_b32 exec_lo, exec_lo, s24
	s_xor_b32 s24, s25, -1
	s_delay_alu instid0(SALU_CYCLE_1) | instskip(NEXT) | instid1(SALU_CYCLE_1)
	s_and_saveexec_b32 s25, s24
	s_xor_b32 s24, exec_lo, s25
	s_cbranch_execz .LBB11_41
; %bb.61:                               ;   in Loop: Header=BB11_42 Depth=2
	v_lshl_add_u32 v10, v16, 2, v7
	ds_load_b32 v16, v10
	v_lshl_add_u64 v[10:11], v[8:9], 2, s[8:9]
	global_load_b32 v9, v[10:11], off
	s_wait_dscnt 0x0
	global_load_b32 v17, v16, s[8:9] scale_offset
	s_wait_loadcnt 0x0
	v_fma_f32 v9, -v15, v9, v17
	global_store_b32 v16, v9, s[8:9] scale_offset
	s_branch .LBB11_41
.LBB11_62:
	s_or_b32 exec_lo, exec_lo, s2
	s_mov_b32 s5, -1
	s_mov_b32 s4, exec_lo
	s_wait_storecnt 0x0
	v_cmpx_lt_i32_e32 -1, v6
	s_cbranch_execz .LBB11_78
; %bb.63:
	global_load_b32 v8, v6, s[8:9] scale_offset
	v_cmp_eq_u32_e64 s2, 0, v12
	s_wait_loadcnt 0x0
	v_cmp_gt_f32_e32 vcc_lo, 0, v8
	v_cndmask_b32_e64 v0, v8, -v8, vcc_lo
	s_and_not1_b32 vcc_lo, exec_lo, s29
	s_delay_alu instid0(VALU_DEP_1)
	v_cvt_f64_f32_e32 v[0:1], v0
	s_cbranch_vccnz .LBB11_67
; %bb.64:
	v_cvt_f64_f32_e32 v[10:11], s30
	s_cmp_eq_u64 s[20:21], 8
	s_cselect_b32 vcc_lo, -1, 0
	s_delay_alu instid0(VALU_DEP_1) | instskip(NEXT) | instid1(VALU_DEP_1)
	v_dual_cndmask_b32 v5, v11, v5 :: v_dual_cndmask_b32 v4, v10, v4
	v_cmp_ge_f64_e32 vcc_lo, v[4:5], v[0:1]
	s_and_b32 s6, s2, vcc_lo
	s_delay_alu instid0(SALU_CYCLE_1)
	s_and_saveexec_b32 s5, s6
	s_cbranch_execz .LBB11_66
; %bb.65:
	v_dual_mov_b32 v7, 0 :: v_dual_mov_b32 v9, s3
	s_delay_alu instid0(VALU_DEP_1)
	v_lshl_add_u64 v[4:5], v[6:7], 2, s[8:9]
	global_store_b32 v[4:5], v9, off
	global_wb scope:SCOPE_DEV
	s_wait_storecnt 0x0
	global_inv scope:SCOPE_DEV
.LBB11_66:
	s_wait_xcnt 0x0
	s_or_b32 exec_lo, exec_lo, s5
	s_mov_b32 s5, 0
.LBB11_67:
	s_delay_alu instid0(SALU_CYCLE_1)
	s_and_not1_b32 vcc_lo, exec_lo, s5
	s_cbranch_vccnz .LBB11_78
; %bb.68:
	s_load_b64 s[0:1], s[0:1], 0x48
	s_wait_kmcnt 0x0
	s_delay_alu instid0(VALU_DEP_1) | instskip(SKIP_2) | instid1(SALU_CYCLE_1)
	v_cmp_ge_f64_e32 vcc_lo, s[0:1], v[0:1]
	v_add_nc_u32_e32 v0, s28, v2
	s_and_b32 s1, s2, vcc_lo
	s_and_saveexec_b32 s0, s1
	s_cbranch_execz .LBB11_73
; %bb.69:
	s_mov_b32 s3, exec_lo
	s_brev_b32 s1, -2
.LBB11_70:                              ; =>This Inner Loop Header: Depth=1
	s_ctz_i32_b32 s5, s3
	s_delay_alu instid0(SALU_CYCLE_1) | instskip(SKIP_1) | instid1(SALU_CYCLE_1)
	v_readlane_b32 s6, v0, s5
	s_lshl_b32 s5, 1, s5
	s_and_not1_b32 s3, s3, s5
	s_min_i32 s1, s1, s6
	s_cmp_lg_u32 s3, 0
	s_cbranch_scc1 .LBB11_70
; %bb.71:
	v_mbcnt_lo_u32_b32 v1, exec_lo, 0
	s_mov_b32 s3, exec_lo
	s_delay_alu instid0(VALU_DEP_1)
	v_cmpx_eq_u32_e32 0, v1
	s_xor_b32 s3, exec_lo, s3
	s_cbranch_execz .LBB11_73
; %bb.72:
	v_dual_mov_b32 v1, 0 :: v_dual_mov_b32 v4, s1
	global_atomic_min_i32 v1, v4, s[18:19] scope:SCOPE_DEV
.LBB11_73:
	s_wait_xcnt 0x0
	s_or_b32 exec_lo, exec_lo, s0
	v_cmp_eq_f32_e32 vcc_lo, 0, v8
	s_and_b32 s0, s2, vcc_lo
	s_delay_alu instid0(SALU_CYCLE_1)
	s_and_b32 exec_lo, exec_lo, s0
	s_cbranch_execz .LBB11_78
; %bb.74:
	s_mov_b32 s1, exec_lo
	s_brev_b32 s0, -2
.LBB11_75:                              ; =>This Inner Loop Header: Depth=1
	s_ctz_i32_b32 s2, s1
	s_delay_alu instid0(SALU_CYCLE_1) | instskip(SKIP_1) | instid1(SALU_CYCLE_1)
	v_readlane_b32 s3, v0, s2
	s_lshl_b32 s2, 1, s2
	s_and_not1_b32 s1, s1, s2
	s_min_i32 s0, s0, s3
	s_cmp_lg_u32 s1, 0
	s_cbranch_scc1 .LBB11_75
; %bb.76:
	v_mbcnt_lo_u32_b32 v0, exec_lo, 0
	s_mov_b32 s1, exec_lo
	s_delay_alu instid0(VALU_DEP_1)
	v_cmpx_eq_u32_e32 0, v0
	s_xor_b32 s1, exec_lo, s1
	s_cbranch_execz .LBB11_78
; %bb.77:
	v_dual_mov_b32 v0, 0 :: v_dual_mov_b32 v1, s0
	global_atomic_min_i32 v0, v1, s[16:17] scope:SCOPE_DEV
.LBB11_78:
	s_wait_xcnt 0x0
	s_or_b32 exec_lo, exec_lo, s4
	v_cmp_eq_u32_e32 vcc_lo, 0, v12
	global_wb scope:SCOPE_DEV
	s_wait_loadcnt 0x0
	s_wait_storecnt 0x0
	global_inv scope:SCOPE_DEV
	s_and_b32 exec_lo, exec_lo, vcc_lo
	s_cbranch_execz .LBB11_80
; %bb.79:
	v_lshl_add_u64 v[0:1], v[2:3], 2, s[12:13]
	v_mov_b32_e32 v2, 1
	global_wb scope:SCOPE_DEV
	s_wait_loadcnt 0x0
	s_wait_storecnt 0x0
	global_store_b32 v[0:1], v2, off scope:SCOPE_DEV
.LBB11_80:
	s_endpgm
	.section	.rodata,"a",@progbits
	.p2align	6, 0x0
	.amdhsa_kernel _ZN9rocsparseL12csrilu0_hashILj256ELj64ELj16EfEEviPKiS2_PT2_S2_PiS2_S5_S5_d21rocsparse_index_base_imNS_24const_host_device_scalarIfEENS7_IdEENS7_IS3_EEb
		.amdhsa_group_segment_fixed_size 32768
		.amdhsa_private_segment_fixed_size 0
		.amdhsa_kernarg_size 124
		.amdhsa_user_sgpr_count 2
		.amdhsa_user_sgpr_dispatch_ptr 0
		.amdhsa_user_sgpr_queue_ptr 0
		.amdhsa_user_sgpr_kernarg_segment_ptr 1
		.amdhsa_user_sgpr_dispatch_id 0
		.amdhsa_user_sgpr_kernarg_preload_length 0
		.amdhsa_user_sgpr_kernarg_preload_offset 0
		.amdhsa_user_sgpr_private_segment_size 0
		.amdhsa_wavefront_size32 1
		.amdhsa_uses_dynamic_stack 0
		.amdhsa_enable_private_segment 0
		.amdhsa_system_sgpr_workgroup_id_x 1
		.amdhsa_system_sgpr_workgroup_id_y 0
		.amdhsa_system_sgpr_workgroup_id_z 0
		.amdhsa_system_sgpr_workgroup_info 0
		.amdhsa_system_vgpr_workitem_id 0
		.amdhsa_next_free_vgpr 21
		.amdhsa_next_free_sgpr 42
		.amdhsa_named_barrier_count 0
		.amdhsa_reserve_vcc 1
		.amdhsa_float_round_mode_32 0
		.amdhsa_float_round_mode_16_64 0
		.amdhsa_float_denorm_mode_32 3
		.amdhsa_float_denorm_mode_16_64 3
		.amdhsa_fp16_overflow 0
		.amdhsa_memory_ordered 1
		.amdhsa_forward_progress 1
		.amdhsa_inst_pref_size 23
		.amdhsa_round_robin_scheduling 0
		.amdhsa_exception_fp_ieee_invalid_op 0
		.amdhsa_exception_fp_denorm_src 0
		.amdhsa_exception_fp_ieee_div_zero 0
		.amdhsa_exception_fp_ieee_overflow 0
		.amdhsa_exception_fp_ieee_underflow 0
		.amdhsa_exception_fp_ieee_inexact 0
		.amdhsa_exception_int_div_zero 0
	.end_amdhsa_kernel
	.section	.text._ZN9rocsparseL12csrilu0_hashILj256ELj64ELj16EfEEviPKiS2_PT2_S2_PiS2_S5_S5_d21rocsparse_index_base_imNS_24const_host_device_scalarIfEENS7_IdEENS7_IS3_EEb,"axG",@progbits,_ZN9rocsparseL12csrilu0_hashILj256ELj64ELj16EfEEviPKiS2_PT2_S2_PiS2_S5_S5_d21rocsparse_index_base_imNS_24const_host_device_scalarIfEENS7_IdEENS7_IS3_EEb,comdat
.Lfunc_end11:
	.size	_ZN9rocsparseL12csrilu0_hashILj256ELj64ELj16EfEEviPKiS2_PT2_S2_PiS2_S5_S5_d21rocsparse_index_base_imNS_24const_host_device_scalarIfEENS7_IdEENS7_IS3_EEb, .Lfunc_end11-_ZN9rocsparseL12csrilu0_hashILj256ELj64ELj16EfEEviPKiS2_PT2_S2_PiS2_S5_S5_d21rocsparse_index_base_imNS_24const_host_device_scalarIfEENS7_IdEENS7_IS3_EEb
                                        ; -- End function
	.set _ZN9rocsparseL12csrilu0_hashILj256ELj64ELj16EfEEviPKiS2_PT2_S2_PiS2_S5_S5_d21rocsparse_index_base_imNS_24const_host_device_scalarIfEENS7_IdEENS7_IS3_EEb.num_vgpr, 21
	.set _ZN9rocsparseL12csrilu0_hashILj256ELj64ELj16EfEEviPKiS2_PT2_S2_PiS2_S5_S5_d21rocsparse_index_base_imNS_24const_host_device_scalarIfEENS7_IdEENS7_IS3_EEb.num_agpr, 0
	.set _ZN9rocsparseL12csrilu0_hashILj256ELj64ELj16EfEEviPKiS2_PT2_S2_PiS2_S5_S5_d21rocsparse_index_base_imNS_24const_host_device_scalarIfEENS7_IdEENS7_IS3_EEb.numbered_sgpr, 42
	.set _ZN9rocsparseL12csrilu0_hashILj256ELj64ELj16EfEEviPKiS2_PT2_S2_PiS2_S5_S5_d21rocsparse_index_base_imNS_24const_host_device_scalarIfEENS7_IdEENS7_IS3_EEb.num_named_barrier, 0
	.set _ZN9rocsparseL12csrilu0_hashILj256ELj64ELj16EfEEviPKiS2_PT2_S2_PiS2_S5_S5_d21rocsparse_index_base_imNS_24const_host_device_scalarIfEENS7_IdEENS7_IS3_EEb.private_seg_size, 0
	.set _ZN9rocsparseL12csrilu0_hashILj256ELj64ELj16EfEEviPKiS2_PT2_S2_PiS2_S5_S5_d21rocsparse_index_base_imNS_24const_host_device_scalarIfEENS7_IdEENS7_IS3_EEb.uses_vcc, 1
	.set _ZN9rocsparseL12csrilu0_hashILj256ELj64ELj16EfEEviPKiS2_PT2_S2_PiS2_S5_S5_d21rocsparse_index_base_imNS_24const_host_device_scalarIfEENS7_IdEENS7_IS3_EEb.uses_flat_scratch, 0
	.set _ZN9rocsparseL12csrilu0_hashILj256ELj64ELj16EfEEviPKiS2_PT2_S2_PiS2_S5_S5_d21rocsparse_index_base_imNS_24const_host_device_scalarIfEENS7_IdEENS7_IS3_EEb.has_dyn_sized_stack, 0
	.set _ZN9rocsparseL12csrilu0_hashILj256ELj64ELj16EfEEviPKiS2_PT2_S2_PiS2_S5_S5_d21rocsparse_index_base_imNS_24const_host_device_scalarIfEENS7_IdEENS7_IS3_EEb.has_recursion, 0
	.set _ZN9rocsparseL12csrilu0_hashILj256ELj64ELj16EfEEviPKiS2_PT2_S2_PiS2_S5_S5_d21rocsparse_index_base_imNS_24const_host_device_scalarIfEENS7_IdEENS7_IS3_EEb.has_indirect_call, 0
	.section	.AMDGPU.csdata,"",@progbits
; Kernel info:
; codeLenInByte = 2864
; TotalNumSgprs: 44
; NumVgprs: 21
; ScratchSize: 0
; MemoryBound: 0
; FloatMode: 240
; IeeeMode: 1
; LDSByteSize: 32768 bytes/workgroup (compile time only)
; SGPRBlocks: 0
; VGPRBlocks: 1
; NumSGPRsForWavesPerEU: 44
; NumVGPRsForWavesPerEU: 21
; NamedBarCnt: 0
; Occupancy: 16
; WaveLimiterHint : 1
; COMPUTE_PGM_RSRC2:SCRATCH_EN: 0
; COMPUTE_PGM_RSRC2:USER_SGPR: 2
; COMPUTE_PGM_RSRC2:TRAP_HANDLER: 0
; COMPUTE_PGM_RSRC2:TGID_X_EN: 1
; COMPUTE_PGM_RSRC2:TGID_Y_EN: 0
; COMPUTE_PGM_RSRC2:TGID_Z_EN: 0
; COMPUTE_PGM_RSRC2:TIDIG_COMP_CNT: 0
	.section	.text._ZN9rocsparseL17csrilu0_binsearchILj256ELj64ELb0EfEEviPKiS2_PT2_S2_PiS2_S5_S5_d21rocsparse_index_base_imNS_24const_host_device_scalarIfEENS7_IdEENS7_IS3_EEb,"axG",@progbits,_ZN9rocsparseL17csrilu0_binsearchILj256ELj64ELb0EfEEviPKiS2_PT2_S2_PiS2_S5_S5_d21rocsparse_index_base_imNS_24const_host_device_scalarIfEENS7_IdEENS7_IS3_EEb,comdat
	.globl	_ZN9rocsparseL17csrilu0_binsearchILj256ELj64ELb0EfEEviPKiS2_PT2_S2_PiS2_S5_S5_d21rocsparse_index_base_imNS_24const_host_device_scalarIfEENS7_IdEENS7_IS3_EEb ; -- Begin function _ZN9rocsparseL17csrilu0_binsearchILj256ELj64ELb0EfEEviPKiS2_PT2_S2_PiS2_S5_S5_d21rocsparse_index_base_imNS_24const_host_device_scalarIfEENS7_IdEENS7_IS3_EEb
	.p2align	8
	.type	_ZN9rocsparseL17csrilu0_binsearchILj256ELj64ELb0EfEEviPKiS2_PT2_S2_PiS2_S5_S5_d21rocsparse_index_base_imNS_24const_host_device_scalarIfEENS7_IdEENS7_IS3_EEb,@function
_ZN9rocsparseL17csrilu0_binsearchILj256ELj64ELb0EfEEviPKiS2_PT2_S2_PiS2_S5_S5_d21rocsparse_index_base_imNS_24const_host_device_scalarIfEENS7_IdEENS7_IS3_EEb: ; @_ZN9rocsparseL17csrilu0_binsearchILj256ELj64ELb0EfEEviPKiS2_PT2_S2_PiS2_S5_S5_d21rocsparse_index_base_imNS_24const_host_device_scalarIfEENS7_IdEENS7_IS3_EEb
; %bb.0:
	s_clause 0x2
	s_load_b32 s2, s[0:1], 0x78
	s_load_b64 s[28:29], s[0:1], 0x50
	s_load_b256 s[20:27], s[0:1], 0x58
	s_wait_kmcnt 0x0
	s_bitcmp1_b32 s2, 0
	s_cselect_b32 s2, -1, 0
	s_cmp_eq_u32 s29, 0
	s_cselect_b32 s4, -1, 0
	s_cmp_lg_u32 s29, 0
	s_cselect_b32 s29, -1, 0
	s_or_b32 s6, s4, s2
	s_delay_alu instid0(SALU_CYCLE_1)
	s_xor_b32 s5, s6, -1
	s_and_b32 s2, s4, exec_lo
	s_cselect_b32 s3, 0, s25
	s_cselect_b32 s2, 0, s24
	;; [unrolled: 1-line block ×3, first 2 shown]
	s_and_b32 vcc_lo, exec_lo, s6
	s_cbranch_vccnz .LBB12_2
; %bb.1:
	s_load_b32 s30, s[22:23], 0x0
	s_mov_b64 s[2:3], s[24:25]
.LBB12_2:
	s_delay_alu instid0(SALU_CYCLE_1)
	v_mov_b64_e32 v[4:5], s[2:3]
	v_cndmask_b32_e64 v1, 0, 1, s5
	s_and_not1_b32 vcc_lo, exec_lo, s5
	s_cbranch_vccnz .LBB12_4
; %bb.3:
	v_mov_b32_e32 v2, 0
	flat_load_b64 v[4:5], v2, s[24:25]
.LBB12_4:
	s_delay_alu instid0(VALU_DEP_1)
	v_cmp_ne_u32_e32 vcc_lo, 1, v1
	s_and_b32 s2, s4, exec_lo
	s_cselect_b32 s3, 0, s26
	s_cbranch_vccnz .LBB12_6
; %bb.5:
	s_load_b32 s3, s[26:27], 0x0
.LBB12_6:
	s_load_b32 s2, s[0:1], 0x0
	s_bfe_u32 s4, ttmp6, 0x4000c
	s_and_b32 s5, ttmp6, 15
	s_add_co_i32 s4, s4, 1
	s_getreg_b32 s6, hwreg(HW_REG_IB_STS2, 6, 4)
	s_mul_i32 s4, ttmp9, s4
	v_lshrrev_b32_e32 v1, 6, v0
	s_add_co_i32 s5, s5, s4
	s_cmp_eq_u32 s6, 0
	s_cselect_b32 s4, ttmp9, s5
	s_delay_alu instid0(SALU_CYCLE_1) | instskip(NEXT) | instid1(SALU_CYCLE_1)
	s_lshl_b32 s4, s4, 2
	v_and_or_b32 v1, 0x3fffffc, s4, v1
	s_wait_kmcnt 0x0
	s_delay_alu instid0(VALU_DEP_1)
	v_cmp_gt_i32_e32 vcc_lo, s2, v1
	s_and_saveexec_b32 s2, vcc_lo
	s_cbranch_execz .LBB12_42
; %bb.7:
	s_load_b512 s[4:19], s[0:1], 0x8
	s_mov_b32 s2, exec_lo
	s_wait_kmcnt 0x0
	global_load_b32 v2, v1, s[14:15] scale_offset
	v_and_b32_e32 v12, 63, v0
	s_wait_loadcnt 0x0
	s_clause 0x1
	global_load_b32 v1, v2, s[4:5] scale_offset
	global_load_b32 v6, v2, s[10:11] scale_offset
	v_ashrrev_i32_e32 v3, 31, v2
	s_wait_loadcnt 0x1
	v_subrev_nc_u32_e32 v8, s28, v1
	s_wait_loadcnt 0x0
	s_delay_alu instid0(VALU_DEP_1)
	v_cmpx_lt_i32_e64 v8, v6
	s_cbranch_execz .LBB12_24
; %bb.8:
	v_lshl_add_u64 v[0:1], v[2:3], 2, s[4:5]
	v_add_nc_u32_e32 v7, 1, v12
	s_mov_b32 s14, 0
	global_load_b32 v0, v[0:1], off offset:4
	s_wait_loadcnt 0x0
	v_xad_u32 v13, s28, -1, v0
	s_branch .LBB12_11
.LBB12_9:                               ;   in Loop: Header=BB12_11 Depth=1
	s_or_b32 exec_lo, exec_lo, s22
	v_cmp_ge_i32_e32 vcc_lo, v8, v6
	s_or_not1_b32 s22, vcc_lo, exec_lo
.LBB12_10:                              ;   in Loop: Header=BB12_11 Depth=1
	s_or_b32 exec_lo, exec_lo, s15
	s_delay_alu instid0(SALU_CYCLE_1) | instskip(NEXT) | instid1(SALU_CYCLE_1)
	s_and_b32 s15, exec_lo, s22
	s_or_b32 s14, s15, s14
	s_delay_alu instid0(SALU_CYCLE_1)
	s_and_not1_b32 exec_lo, exec_lo, s14
	s_cbranch_execz .LBB12_24
.LBB12_11:                              ; =>This Loop Header: Depth=1
                                        ;     Child Loop BB12_13 Depth 2
                                        ;     Child Loop BB12_18 Depth 2
                                        ;       Child Loop BB12_20 Depth 3
	s_clause 0x1
	global_load_b32 v0, v8, s[6:7] scale_offset
	global_load_b32 v14, v8, s[8:9] scale_offset
	s_mov_b32 s15, exec_lo
	s_wait_loadcnt 0x1
	v_subrev_nc_u32_e32 v0, s28, v0
	s_clause 0x2
	global_load_b32 v16, v0, s[4:5] offset:4 scale_offset
	global_load_b32 v15, v0, s[10:11] scale_offset
	global_load_b32 v1, v0, s[12:13] scale_offset scope:SCOPE_DEV
	s_wait_loadcnt 0x0
	s_wait_xcnt 0x0
	v_cmpx_eq_u32_e32 0, v1
	s_cbranch_execz .LBB12_14
; %bb.12:                               ;   in Loop: Header=BB12_11 Depth=1
	v_ashrrev_i32_e32 v1, 31, v0
	s_mov_b32 s22, 0
	s_delay_alu instid0(VALU_DEP_1)
	v_lshl_add_u64 v[0:1], v[0:1], 2, s[12:13]
.LBB12_13:                              ;   Parent Loop BB12_11 Depth=1
                                        ; =>  This Inner Loop Header: Depth=2
	global_load_b32 v9, v[0:1], off scope:SCOPE_DEV
	s_wait_loadcnt 0x0
	v_cmp_ne_u32_e32 vcc_lo, 0, v9
	s_or_b32 s22, vcc_lo, s22
	s_wait_xcnt 0x0
	s_and_not1_b32 exec_lo, exec_lo, s22
	s_cbranch_execnz .LBB12_13
.LBB12_14:                              ;   in Loop: Header=BB12_11 Depth=1
	s_or_b32 exec_lo, exec_lo, s15
	v_ashrrev_i32_e32 v9, 31, v8
	v_cmp_eq_u32_e32 vcc_lo, -1, v15
	s_wait_dscnt 0x0
	global_inv scope:SCOPE_DEV
	s_mov_b32 s22, -1
	s_mov_b32 s15, exec_lo
	v_lshl_add_u64 v[10:11], v[8:9], 2, s[8:9]
	v_subrev_nc_u32_e32 v9, s28, v16
	s_delay_alu instid0(VALU_DEP_1) | instskip(NEXT) | instid1(VALU_DEP_1)
	v_add_nc_u32_e32 v0, -1, v9
	v_cndmask_b32_e32 v0, v15, v0, vcc_lo
	global_load_b32 v1, v0, s[8:9] scale_offset
	s_wait_loadcnt 0x0
	s_wait_xcnt 0x0
	v_cmpx_neq_f32_e32 0, v1
	s_xor_b32 s15, exec_lo, s15
	s_cbranch_execz .LBB12_10
; %bb.15:                               ;   in Loop: Header=BB12_11 Depth=1
	v_div_scale_f32 v15, null, v1, v1, v14
	v_div_scale_f32 v18, vcc_lo, v14, v1, v14
	v_add_nc_u32_e32 v0, v7, v0
	s_delay_alu instid0(VALU_DEP_3) | instskip(SKIP_2) | instid1(TRANS32_DEP_1)
	v_rcp_f32_e32 v16, v15
	s_mov_b32 s22, exec_lo
	v_add_nc_u32_e32 v8, 1, v8
	v_fma_f32 v17, -v15, v16, 1.0
	s_delay_alu instid0(VALU_DEP_1) | instskip(NEXT) | instid1(VALU_DEP_1)
	v_fmac_f32_e32 v16, v17, v16
	v_mul_f32_e32 v17, v18, v16
	s_delay_alu instid0(VALU_DEP_1) | instskip(NEXT) | instid1(VALU_DEP_1)
	v_fma_f32 v19, -v15, v17, v18
	v_fmac_f32_e32 v17, v19, v16
	s_delay_alu instid0(VALU_DEP_1) | instskip(NEXT) | instid1(VALU_DEP_1)
	v_fma_f32 v15, -v15, v17, v18
	v_div_fmas_f32 v15, v15, v16, v17
	s_delay_alu instid0(VALU_DEP_1)
	v_div_fixup_f32 v14, v15, v1, v14
	global_store_b32 v[10:11], v14, off
	s_wait_xcnt 0x0
	v_cmpx_lt_i32_e64 v0, v9
	s_cbranch_execz .LBB12_9
; %bb.16:                               ;   in Loop: Header=BB12_11 Depth=1
	v_mov_b32_e32 v10, v8
	s_mov_b32 s23, 0
	s_branch .LBB12_18
.LBB12_17:                              ;   in Loop: Header=BB12_18 Depth=2
	s_wait_xcnt 0x0
	s_or_b32 exec_lo, exec_lo, s24
	v_add_nc_u32_e32 v0, 64, v0
	s_delay_alu instid0(VALU_DEP_1) | instskip(SKIP_1) | instid1(SALU_CYCLE_1)
	v_cmp_ge_i32_e32 vcc_lo, v0, v9
	s_or_b32 s23, vcc_lo, s23
	s_and_not1_b32 exec_lo, exec_lo, s23
	s_cbranch_execz .LBB12_9
.LBB12_18:                              ;   Parent Loop BB12_11 Depth=1
                                        ; =>  This Loop Header: Depth=2
                                        ;       Child Loop BB12_20 Depth 3
	s_delay_alu instid0(VALU_DEP_1) | instskip(SKIP_1) | instid1(VALU_DEP_1)
	v_add_nc_u32_e32 v1, v10, v13
	s_mov_b32 s24, exec_lo
	v_ashrrev_i32_e32 v1, 1, v1
	s_clause 0x1
	global_load_b32 v11, v0, s[6:7] scale_offset
	global_load_b32 v15, v1, s[6:7] scale_offset
	s_wait_xcnt 0x0
	v_cmpx_lt_i32_e64 v10, v13
	s_cbranch_execz .LBB12_22
; %bb.19:                               ;   in Loop: Header=BB12_18 Depth=2
	v_mov_b32_e32 v16, v13
	s_mov_b32 s25, 0
.LBB12_20:                              ;   Parent Loop BB12_11 Depth=1
                                        ;     Parent Loop BB12_18 Depth=2
                                        ; =>    This Inner Loop Header: Depth=3
	s_wait_loadcnt 0x0
	v_cmp_lt_i32_e32 vcc_lo, v15, v11
	s_delay_alu instid0(VALU_DEP_2) | instskip(NEXT) | instid1(VALU_DEP_1)
	v_dual_cndmask_b32 v16, v1, v16 :: v_dual_add_nc_u32 v17, 1, v1
	v_cndmask_b32_e32 v10, v10, v17, vcc_lo
	s_delay_alu instid0(VALU_DEP_1) | instskip(SKIP_1) | instid1(VALU_DEP_2)
	v_add_nc_u32_e32 v1, v16, v10
	v_cmp_ge_i32_e32 vcc_lo, v10, v16
	v_ashrrev_i32_e32 v1, 1, v1
	s_or_b32 s25, vcc_lo, s25
	global_load_b32 v15, v1, s[6:7] scale_offset
	s_wait_xcnt 0x0
	s_and_not1_b32 exec_lo, exec_lo, s25
	s_cbranch_execnz .LBB12_20
; %bb.21:                               ;   in Loop: Header=BB12_18 Depth=2
	s_or_b32 exec_lo, exec_lo, s25
.LBB12_22:                              ;   in Loop: Header=BB12_18 Depth=2
	s_delay_alu instid0(SALU_CYCLE_1)
	s_or_b32 exec_lo, exec_lo, s24
	v_ashrrev_i32_e32 v1, 31, v0
	s_mov_b32 s24, exec_lo
	s_wait_loadcnt 0x0
	v_cmpx_eq_u32_e64 v15, v11
	s_cbranch_execz .LBB12_17
; %bb.23:                               ;   in Loop: Header=BB12_18 Depth=2
	v_lshl_add_u64 v[16:17], v[0:1], 2, s[8:9]
	s_clause 0x1
	global_load_b32 v1, v[16:17], off
	global_load_b32 v11, v10, s[8:9] scale_offset
	s_wait_loadcnt 0x0
	v_fma_f32 v1, -v14, v1, v11
	global_store_b32 v10, v1, s[8:9] scale_offset
	s_branch .LBB12_17
.LBB12_24:
	s_or_b32 exec_lo, exec_lo, s2
	s_mov_b32 s5, -1
	s_mov_b32 s4, exec_lo
	s_wait_storecnt_dscnt 0x0
	v_cmpx_lt_i32_e32 -1, v6
	s_cbranch_execz .LBB12_40
; %bb.25:
	global_load_b32 v8, v6, s[8:9] scale_offset
	v_cmp_eq_u32_e64 s2, 0, v12
	s_wait_loadcnt 0x0
	v_cmp_gt_f32_e32 vcc_lo, 0, v8
	v_cndmask_b32_e64 v0, v8, -v8, vcc_lo
	s_and_not1_b32 vcc_lo, exec_lo, s29
	s_delay_alu instid0(VALU_DEP_1)
	v_cvt_f64_f32_e32 v[0:1], v0
	s_cbranch_vccnz .LBB12_29
; %bb.26:
	v_cvt_f64_f32_e32 v[10:11], s30
	s_cmp_eq_u64 s[20:21], 8
	s_cselect_b32 vcc_lo, -1, 0
	s_delay_alu instid0(VALU_DEP_1) | instskip(NEXT) | instid1(VALU_DEP_1)
	v_dual_cndmask_b32 v5, v11, v5 :: v_dual_cndmask_b32 v4, v10, v4
	v_cmp_ge_f64_e32 vcc_lo, v[4:5], v[0:1]
	s_and_b32 s6, s2, vcc_lo
	s_delay_alu instid0(SALU_CYCLE_1)
	s_and_saveexec_b32 s5, s6
	s_cbranch_execz .LBB12_28
; %bb.27:
	v_mov_b32_e32 v7, 0
	s_delay_alu instid0(VALU_DEP_1)
	v_lshl_add_u64 v[4:5], v[6:7], 2, s[8:9]
	v_mov_b32_e32 v6, s3
	global_store_b32 v[4:5], v6, off
.LBB12_28:
	s_wait_xcnt 0x0
	s_or_b32 exec_lo, exec_lo, s5
	s_mov_b32 s5, 0
.LBB12_29:
	s_delay_alu instid0(SALU_CYCLE_1)
	s_and_not1_b32 vcc_lo, exec_lo, s5
	s_cbranch_vccnz .LBB12_40
; %bb.30:
	s_load_b64 s[0:1], s[0:1], 0x48
	s_wait_kmcnt 0x0
	s_delay_alu instid0(VALU_DEP_1) | instskip(SKIP_2) | instid1(SALU_CYCLE_1)
	v_cmp_ge_f64_e32 vcc_lo, s[0:1], v[0:1]
	v_add_nc_u32_e32 v0, s28, v2
	s_and_b32 s1, s2, vcc_lo
	s_and_saveexec_b32 s0, s1
	s_cbranch_execz .LBB12_35
; %bb.31:
	s_mov_b32 s3, exec_lo
	s_brev_b32 s1, -2
.LBB12_32:                              ; =>This Inner Loop Header: Depth=1
	s_ctz_i32_b32 s5, s3
	s_delay_alu instid0(SALU_CYCLE_1) | instskip(SKIP_1) | instid1(SALU_CYCLE_1)
	v_readlane_b32 s6, v0, s5
	s_lshl_b32 s5, 1, s5
	s_and_not1_b32 s3, s3, s5
	s_min_i32 s1, s1, s6
	s_cmp_lg_u32 s3, 0
	s_cbranch_scc1 .LBB12_32
; %bb.33:
	v_mbcnt_lo_u32_b32 v1, exec_lo, 0
	s_mov_b32 s3, exec_lo
	s_delay_alu instid0(VALU_DEP_1)
	v_cmpx_eq_u32_e32 0, v1
	s_xor_b32 s3, exec_lo, s3
	s_cbranch_execz .LBB12_35
; %bb.34:
	v_dual_mov_b32 v1, 0 :: v_dual_mov_b32 v4, s1
	global_atomic_min_i32 v1, v4, s[18:19] scope:SCOPE_DEV
.LBB12_35:
	s_wait_xcnt 0x0
	s_or_b32 exec_lo, exec_lo, s0
	v_cmp_eq_f32_e32 vcc_lo, 0, v8
	s_and_b32 s0, s2, vcc_lo
	s_delay_alu instid0(SALU_CYCLE_1)
	s_and_b32 exec_lo, exec_lo, s0
	s_cbranch_execz .LBB12_40
; %bb.36:
	s_mov_b32 s1, exec_lo
	s_brev_b32 s0, -2
.LBB12_37:                              ; =>This Inner Loop Header: Depth=1
	s_ctz_i32_b32 s2, s1
	s_delay_alu instid0(SALU_CYCLE_1) | instskip(SKIP_1) | instid1(SALU_CYCLE_1)
	v_readlane_b32 s3, v0, s2
	s_lshl_b32 s2, 1, s2
	s_and_not1_b32 s1, s1, s2
	s_min_i32 s0, s0, s3
	s_cmp_lg_u32 s1, 0
	s_cbranch_scc1 .LBB12_37
; %bb.38:
	v_mbcnt_lo_u32_b32 v0, exec_lo, 0
	s_mov_b32 s1, exec_lo
	s_delay_alu instid0(VALU_DEP_1)
	v_cmpx_eq_u32_e32 0, v0
	s_xor_b32 s1, exec_lo, s1
	s_cbranch_execz .LBB12_40
; %bb.39:
	v_dual_mov_b32 v0, 0 :: v_dual_mov_b32 v1, s0
	global_atomic_min_i32 v0, v1, s[16:17] scope:SCOPE_DEV
.LBB12_40:
	s_wait_xcnt 0x0
	s_or_b32 exec_lo, exec_lo, s4
	v_cmp_eq_u32_e32 vcc_lo, 0, v12
	global_wb scope:SCOPE_DEV
	s_wait_storecnt 0x0
	global_inv scope:SCOPE_DEV
	s_and_b32 exec_lo, exec_lo, vcc_lo
	s_cbranch_execz .LBB12_42
; %bb.41:
	v_lshl_add_u64 v[0:1], v[2:3], 2, s[12:13]
	v_mov_b32_e32 v2, 1
	global_wb scope:SCOPE_DEV
	s_wait_loadcnt 0x0
	s_wait_storecnt 0x0
	global_store_b32 v[0:1], v2, off scope:SCOPE_DEV
.LBB12_42:
	s_endpgm
	.section	.rodata,"a",@progbits
	.p2align	6, 0x0
	.amdhsa_kernel _ZN9rocsparseL17csrilu0_binsearchILj256ELj64ELb0EfEEviPKiS2_PT2_S2_PiS2_S5_S5_d21rocsparse_index_base_imNS_24const_host_device_scalarIfEENS7_IdEENS7_IS3_EEb
		.amdhsa_group_segment_fixed_size 0
		.amdhsa_private_segment_fixed_size 0
		.amdhsa_kernarg_size 124
		.amdhsa_user_sgpr_count 2
		.amdhsa_user_sgpr_dispatch_ptr 0
		.amdhsa_user_sgpr_queue_ptr 0
		.amdhsa_user_sgpr_kernarg_segment_ptr 1
		.amdhsa_user_sgpr_dispatch_id 0
		.amdhsa_user_sgpr_kernarg_preload_length 0
		.amdhsa_user_sgpr_kernarg_preload_offset 0
		.amdhsa_user_sgpr_private_segment_size 0
		.amdhsa_wavefront_size32 1
		.amdhsa_uses_dynamic_stack 0
		.amdhsa_enable_private_segment 0
		.amdhsa_system_sgpr_workgroup_id_x 1
		.amdhsa_system_sgpr_workgroup_id_y 0
		.amdhsa_system_sgpr_workgroup_id_z 0
		.amdhsa_system_sgpr_workgroup_info 0
		.amdhsa_system_vgpr_workitem_id 0
		.amdhsa_next_free_vgpr 20
		.amdhsa_next_free_sgpr 31
		.amdhsa_named_barrier_count 0
		.amdhsa_reserve_vcc 1
		.amdhsa_float_round_mode_32 0
		.amdhsa_float_round_mode_16_64 0
		.amdhsa_float_denorm_mode_32 3
		.amdhsa_float_denorm_mode_16_64 3
		.amdhsa_fp16_overflow 0
		.amdhsa_memory_ordered 1
		.amdhsa_forward_progress 1
		.amdhsa_inst_pref_size 13
		.amdhsa_round_robin_scheduling 0
		.amdhsa_exception_fp_ieee_invalid_op 0
		.amdhsa_exception_fp_denorm_src 0
		.amdhsa_exception_fp_ieee_div_zero 0
		.amdhsa_exception_fp_ieee_overflow 0
		.amdhsa_exception_fp_ieee_underflow 0
		.amdhsa_exception_fp_ieee_inexact 0
		.amdhsa_exception_int_div_zero 0
	.end_amdhsa_kernel
	.section	.text._ZN9rocsparseL17csrilu0_binsearchILj256ELj64ELb0EfEEviPKiS2_PT2_S2_PiS2_S5_S5_d21rocsparse_index_base_imNS_24const_host_device_scalarIfEENS7_IdEENS7_IS3_EEb,"axG",@progbits,_ZN9rocsparseL17csrilu0_binsearchILj256ELj64ELb0EfEEviPKiS2_PT2_S2_PiS2_S5_S5_d21rocsparse_index_base_imNS_24const_host_device_scalarIfEENS7_IdEENS7_IS3_EEb,comdat
.Lfunc_end12:
	.size	_ZN9rocsparseL17csrilu0_binsearchILj256ELj64ELb0EfEEviPKiS2_PT2_S2_PiS2_S5_S5_d21rocsparse_index_base_imNS_24const_host_device_scalarIfEENS7_IdEENS7_IS3_EEb, .Lfunc_end12-_ZN9rocsparseL17csrilu0_binsearchILj256ELj64ELb0EfEEviPKiS2_PT2_S2_PiS2_S5_S5_d21rocsparse_index_base_imNS_24const_host_device_scalarIfEENS7_IdEENS7_IS3_EEb
                                        ; -- End function
	.set _ZN9rocsparseL17csrilu0_binsearchILj256ELj64ELb0EfEEviPKiS2_PT2_S2_PiS2_S5_S5_d21rocsparse_index_base_imNS_24const_host_device_scalarIfEENS7_IdEENS7_IS3_EEb.num_vgpr, 20
	.set _ZN9rocsparseL17csrilu0_binsearchILj256ELj64ELb0EfEEviPKiS2_PT2_S2_PiS2_S5_S5_d21rocsparse_index_base_imNS_24const_host_device_scalarIfEENS7_IdEENS7_IS3_EEb.num_agpr, 0
	.set _ZN9rocsparseL17csrilu0_binsearchILj256ELj64ELb0EfEEviPKiS2_PT2_S2_PiS2_S5_S5_d21rocsparse_index_base_imNS_24const_host_device_scalarIfEENS7_IdEENS7_IS3_EEb.numbered_sgpr, 31
	.set _ZN9rocsparseL17csrilu0_binsearchILj256ELj64ELb0EfEEviPKiS2_PT2_S2_PiS2_S5_S5_d21rocsparse_index_base_imNS_24const_host_device_scalarIfEENS7_IdEENS7_IS3_EEb.num_named_barrier, 0
	.set _ZN9rocsparseL17csrilu0_binsearchILj256ELj64ELb0EfEEviPKiS2_PT2_S2_PiS2_S5_S5_d21rocsparse_index_base_imNS_24const_host_device_scalarIfEENS7_IdEENS7_IS3_EEb.private_seg_size, 0
	.set _ZN9rocsparseL17csrilu0_binsearchILj256ELj64ELb0EfEEviPKiS2_PT2_S2_PiS2_S5_S5_d21rocsparse_index_base_imNS_24const_host_device_scalarIfEENS7_IdEENS7_IS3_EEb.uses_vcc, 1
	.set _ZN9rocsparseL17csrilu0_binsearchILj256ELj64ELb0EfEEviPKiS2_PT2_S2_PiS2_S5_S5_d21rocsparse_index_base_imNS_24const_host_device_scalarIfEENS7_IdEENS7_IS3_EEb.uses_flat_scratch, 0
	.set _ZN9rocsparseL17csrilu0_binsearchILj256ELj64ELb0EfEEviPKiS2_PT2_S2_PiS2_S5_S5_d21rocsparse_index_base_imNS_24const_host_device_scalarIfEENS7_IdEENS7_IS3_EEb.has_dyn_sized_stack, 0
	.set _ZN9rocsparseL17csrilu0_binsearchILj256ELj64ELb0EfEEviPKiS2_PT2_S2_PiS2_S5_S5_d21rocsparse_index_base_imNS_24const_host_device_scalarIfEENS7_IdEENS7_IS3_EEb.has_recursion, 0
	.set _ZN9rocsparseL17csrilu0_binsearchILj256ELj64ELb0EfEEviPKiS2_PT2_S2_PiS2_S5_S5_d21rocsparse_index_base_imNS_24const_host_device_scalarIfEENS7_IdEENS7_IS3_EEb.has_indirect_call, 0
	.section	.AMDGPU.csdata,"",@progbits
; Kernel info:
; codeLenInByte = 1616
; TotalNumSgprs: 33
; NumVgprs: 20
; ScratchSize: 0
; MemoryBound: 0
; FloatMode: 240
; IeeeMode: 1
; LDSByteSize: 0 bytes/workgroup (compile time only)
; SGPRBlocks: 0
; VGPRBlocks: 1
; NumSGPRsForWavesPerEU: 33
; NumVGPRsForWavesPerEU: 20
; NamedBarCnt: 0
; Occupancy: 16
; WaveLimiterHint : 1
; COMPUTE_PGM_RSRC2:SCRATCH_EN: 0
; COMPUTE_PGM_RSRC2:USER_SGPR: 2
; COMPUTE_PGM_RSRC2:TRAP_HANDLER: 0
; COMPUTE_PGM_RSRC2:TGID_X_EN: 1
; COMPUTE_PGM_RSRC2:TGID_Y_EN: 0
; COMPUTE_PGM_RSRC2:TGID_Z_EN: 0
; COMPUTE_PGM_RSRC2:TIDIG_COMP_CNT: 0
	.section	.text._ZN9rocsparseL17csrilu0_binsearchILj256ELj64ELb1EdEEviPKiS2_PT2_S2_PiS2_S5_S5_d21rocsparse_index_base_imNS_24const_host_device_scalarIfEENS7_IdEENS7_IS3_EEb,"axG",@progbits,_ZN9rocsparseL17csrilu0_binsearchILj256ELj64ELb1EdEEviPKiS2_PT2_S2_PiS2_S5_S5_d21rocsparse_index_base_imNS_24const_host_device_scalarIfEENS7_IdEENS7_IS3_EEb,comdat
	.globl	_ZN9rocsparseL17csrilu0_binsearchILj256ELj64ELb1EdEEviPKiS2_PT2_S2_PiS2_S5_S5_d21rocsparse_index_base_imNS_24const_host_device_scalarIfEENS7_IdEENS7_IS3_EEb ; -- Begin function _ZN9rocsparseL17csrilu0_binsearchILj256ELj64ELb1EdEEviPKiS2_PT2_S2_PiS2_S5_S5_d21rocsparse_index_base_imNS_24const_host_device_scalarIfEENS7_IdEENS7_IS3_EEb
	.p2align	8
	.type	_ZN9rocsparseL17csrilu0_binsearchILj256ELj64ELb1EdEEviPKiS2_PT2_S2_PiS2_S5_S5_d21rocsparse_index_base_imNS_24const_host_device_scalarIfEENS7_IdEENS7_IS3_EEb,@function
_ZN9rocsparseL17csrilu0_binsearchILj256ELj64ELb1EdEEviPKiS2_PT2_S2_PiS2_S5_S5_d21rocsparse_index_base_imNS_24const_host_device_scalarIfEENS7_IdEENS7_IS3_EEb: ; @_ZN9rocsparseL17csrilu0_binsearchILj256ELj64ELb1EdEEviPKiS2_PT2_S2_PiS2_S5_S5_d21rocsparse_index_base_imNS_24const_host_device_scalarIfEENS7_IdEENS7_IS3_EEb
; %bb.0:
	s_clause 0x2
	s_load_b32 s2, s[0:1], 0x78
	s_load_b64 s[28:29], s[0:1], 0x50
	s_load_b256 s[20:27], s[0:1], 0x58
	s_wait_kmcnt 0x0
	s_bitcmp1_b32 s2, 0
	s_cselect_b32 s2, -1, 0
	s_cmp_eq_u32 s29, 0
	s_cselect_b32 s4, -1, 0
	s_cmp_lg_u32 s29, 0
	s_cselect_b32 s29, -1, 0
	s_or_b32 s6, s4, s2
	s_delay_alu instid0(SALU_CYCLE_1)
	s_xor_b32 s5, s6, -1
	s_and_b32 s2, s4, exec_lo
	s_cselect_b32 s3, 0, s25
	s_cselect_b32 s2, 0, s24
	;; [unrolled: 1-line block ×3, first 2 shown]
	s_and_b32 vcc_lo, exec_lo, s6
	s_cbranch_vccnz .LBB13_2
; %bb.1:
	s_load_b32 s30, s[22:23], 0x0
	s_mov_b64 s[2:3], s[24:25]
.LBB13_2:
	s_delay_alu instid0(SALU_CYCLE_1)
	v_mov_b64_e32 v[4:5], s[2:3]
	v_cndmask_b32_e64 v1, 0, 1, s5
	s_and_not1_b32 vcc_lo, exec_lo, s5
	s_cbranch_vccnz .LBB13_4
; %bb.3:
	v_mov_b32_e32 v2, 0
	flat_load_b64 v[4:5], v2, s[24:25]
.LBB13_4:
	s_and_b32 s2, s4, exec_lo
	s_cselect_b32 s3, 0, s27
	s_cselect_b32 s2, 0, s26
	v_cmp_ne_u32_e32 vcc_lo, 1, v1
	v_mov_b64_e32 v[6:7], s[2:3]
	s_cbranch_vccnz .LBB13_6
; %bb.5:
	v_mov_b32_e32 v1, 0
	flat_load_b64 v[6:7], v1, s[26:27]
.LBB13_6:
	s_load_b32 s2, s[0:1], 0x0
	s_bfe_u32 s3, ttmp6, 0x4000c
	s_and_b32 s4, ttmp6, 15
	s_add_co_i32 s3, s3, 1
	s_getreg_b32 s5, hwreg(HW_REG_IB_STS2, 6, 4)
	s_mul_i32 s3, ttmp9, s3
	v_lshrrev_b32_e32 v1, 6, v0
	s_add_co_i32 s4, s4, s3
	s_cmp_eq_u32 s5, 0
	s_cselect_b32 s3, ttmp9, s4
	s_delay_alu instid0(SALU_CYCLE_1) | instskip(NEXT) | instid1(SALU_CYCLE_1)
	s_lshl_b32 s3, s3, 2
	v_and_or_b32 v1, 0x3fffffc, s3, v1
	s_wait_kmcnt 0x0
	s_delay_alu instid0(VALU_DEP_1)
	v_cmp_gt_i32_e32 vcc_lo, s2, v1
	s_and_saveexec_b32 s2, vcc_lo
	s_cbranch_execz .LBB13_44
; %bb.7:
	s_load_b512 s[4:19], s[0:1], 0x8
	s_mov_b32 s2, exec_lo
	s_wait_kmcnt 0x0
	global_load_b32 v2, v1, s[14:15] scale_offset
	v_and_b32_e32 v16, 63, v0
	s_wait_loadcnt 0x0
	s_clause 0x1
	global_load_b32 v1, v2, s[4:5] scale_offset
	global_load_b32 v8, v2, s[10:11] scale_offset
	v_ashrrev_i32_e32 v3, 31, v2
	s_wait_loadcnt 0x1
	v_subrev_nc_u32_e32 v10, s28, v1
	s_wait_loadcnt 0x0
	s_delay_alu instid0(VALU_DEP_1)
	v_cmpx_lt_i32_e64 v10, v8
	s_cbranch_execz .LBB13_26
; %bb.8:
	v_lshl_add_u64 v[0:1], v[2:3], 2, s[4:5]
	v_add_nc_u32_e32 v9, 1, v16
	s_mov_b32 s3, 0
	global_load_b32 v0, v[0:1], off offset:4
	s_wait_loadcnt 0x0
	v_xad_u32 v17, s28, -1, v0
	s_branch .LBB13_11
.LBB13_9:                               ;   in Loop: Header=BB13_11 Depth=1
	s_or_b32 exec_lo, exec_lo, s15
	v_cmp_ge_i32_e32 vcc_lo, v10, v8
	s_or_not1_b32 s15, vcc_lo, exec_lo
.LBB13_10:                              ;   in Loop: Header=BB13_11 Depth=1
	s_or_b32 exec_lo, exec_lo, s14
	s_delay_alu instid0(SALU_CYCLE_1) | instskip(NEXT) | instid1(SALU_CYCLE_1)
	s_and_b32 s14, exec_lo, s15
	s_or_b32 s3, s14, s3
	s_delay_alu instid0(SALU_CYCLE_1)
	s_and_not1_b32 exec_lo, exec_lo, s3
	s_cbranch_execz .LBB13_26
.LBB13_11:                              ; =>This Loop Header: Depth=1
                                        ;     Child Loop BB13_14 Depth 2
                                        ;       Child Loop BB13_15 Depth 3
                                        ;     Child Loop BB13_20 Depth 2
                                        ;       Child Loop BB13_22 Depth 3
	s_clause 0x1
	global_load_b32 v11, v10, s[6:7] scale_offset
	global_load_b64 v[0:1], v10, s[8:9] scale_offset
	s_mov_b32 s14, exec_lo
	s_wait_loadcnt 0x1
	v_subrev_nc_u32_e32 v12, s28, v11
	s_clause 0x2
	global_load_b32 v19, v12, s[4:5] offset:4 scale_offset
	global_load_b32 v18, v12, s[10:11] scale_offset
	global_load_b32 v11, v12, s[12:13] scale_offset scope:SCOPE_DEV
	s_wait_loadcnt 0x0
	s_wait_xcnt 0x0
	v_cmpx_eq_u32_e32 0, v11
	s_cbranch_execz .LBB13_16
; %bb.12:                               ;   in Loop: Header=BB13_11 Depth=1
	v_ashrrev_i32_e32 v13, 31, v12
	s_mov_b32 s15, 0
	s_mov_b32 s22, 0
	s_delay_alu instid0(VALU_DEP_1)
	v_lshl_add_u64 v[12:13], v[12:13], 2, s[12:13]
	s_branch .LBB13_14
.LBB13_13:                              ;   in Loop: Header=BB13_14 Depth=2
	global_load_b32 v11, v[12:13], off scope:SCOPE_DEV
	s_cmp_lt_u32 s22, 0xf43
	s_cselect_b32 s23, -1, 0
	s_delay_alu instid0(SALU_CYCLE_1)
	s_cmp_lg_u32 s23, 0
	s_add_co_ci_u32 s22, s22, 0
	s_wait_loadcnt 0x0
	v_cmp_ne_u32_e32 vcc_lo, 0, v11
	s_or_b32 s15, vcc_lo, s15
	s_wait_xcnt 0x0
	s_and_not1_b32 exec_lo, exec_lo, s15
	s_cbranch_execz .LBB13_16
.LBB13_14:                              ;   Parent Loop BB13_11 Depth=1
                                        ; =>  This Loop Header: Depth=2
                                        ;       Child Loop BB13_15 Depth 3
	s_cmp_eq_u32 s22, 0
	s_mov_b32 s23, s22
	s_cbranch_scc1 .LBB13_13
.LBB13_15:                              ;   Parent Loop BB13_11 Depth=1
                                        ;     Parent Loop BB13_14 Depth=2
                                        ; =>    This Inner Loop Header: Depth=3
	s_add_co_i32 s23, s23, -1
	s_sleep 1
	s_cmp_eq_u32 s23, 0
	s_cbranch_scc0 .LBB13_15
	s_branch .LBB13_13
.LBB13_16:                              ;   in Loop: Header=BB13_11 Depth=1
	s_or_b32 exec_lo, exec_lo, s14
	v_cmp_eq_u32_e32 vcc_lo, -1, v18
	v_ashrrev_i32_e32 v11, 31, v10
	s_wait_dscnt 0x0
	global_inv scope:SCOPE_DEV
	s_mov_b32 s15, -1
	s_mov_b32 s14, exec_lo
	v_lshl_add_u64 v[14:15], v[10:11], 3, s[8:9]
	v_subrev_nc_u32_e32 v11, s28, v19
	s_delay_alu instid0(VALU_DEP_1) | instskip(NEXT) | instid1(VALU_DEP_1)
	v_add_nc_u32_e32 v12, -1, v11
	v_cndmask_b32_e32 v18, v18, v12, vcc_lo
	global_load_b64 v[12:13], v18, s[8:9] scale_offset
	s_wait_loadcnt 0x0
	s_wait_xcnt 0x0
	v_cmpx_neq_f64_e32 0, v[12:13]
	s_xor_b32 s14, exec_lo, s14
	s_cbranch_execz .LBB13_10
; %bb.17:                               ;   in Loop: Header=BB13_11 Depth=1
	v_div_scale_f64 v[20:21], null, v[12:13], v[12:13], v[0:1]
	v_add_nc_u32_e32 v10, 1, v10
	s_mov_b32 s15, exec_lo
	s_delay_alu instid0(VALU_DEP_2) | instskip(SKIP_1) | instid1(TRANS32_DEP_1)
	v_rcp_f64_e32 v[22:23], v[20:21]
	v_nop
	v_fma_f64 v[24:25], -v[20:21], v[22:23], 1.0
	s_delay_alu instid0(VALU_DEP_1) | instskip(NEXT) | instid1(VALU_DEP_1)
	v_fmac_f64_e32 v[22:23], v[22:23], v[24:25]
	v_fma_f64 v[24:25], -v[20:21], v[22:23], 1.0
	s_delay_alu instid0(VALU_DEP_1) | instskip(SKIP_1) | instid1(VALU_DEP_1)
	v_fmac_f64_e32 v[22:23], v[22:23], v[24:25]
	v_div_scale_f64 v[24:25], vcc_lo, v[0:1], v[12:13], v[0:1]
	v_mul_f64_e32 v[26:27], v[24:25], v[22:23]
	s_delay_alu instid0(VALU_DEP_1) | instskip(NEXT) | instid1(VALU_DEP_1)
	v_fma_f64 v[20:21], -v[20:21], v[26:27], v[24:25]
	v_div_fmas_f64 v[20:21], v[20:21], v[22:23], v[26:27]
	s_delay_alu instid0(VALU_DEP_1)
	v_div_fixup_f64 v[0:1], v[20:21], v[12:13], v[0:1]
	v_add_nc_u32_e32 v12, v9, v18
	global_store_b64 v[14:15], v[0:1], off
	s_wait_xcnt 0x0
	v_cmpx_lt_i32_e64 v12, v11
	s_cbranch_execz .LBB13_9
; %bb.18:                               ;   in Loop: Header=BB13_11 Depth=1
	v_mov_b32_e32 v14, v10
	s_mov_b32 s22, 0
	s_branch .LBB13_20
.LBB13_19:                              ;   in Loop: Header=BB13_20 Depth=2
	s_wait_xcnt 0x0
	s_or_b32 exec_lo, exec_lo, s23
	v_add_nc_u32_e32 v12, 64, v12
	s_delay_alu instid0(VALU_DEP_1) | instskip(SKIP_1) | instid1(SALU_CYCLE_1)
	v_cmp_ge_i32_e32 vcc_lo, v12, v11
	s_or_b32 s22, vcc_lo, s22
	s_and_not1_b32 exec_lo, exec_lo, s22
	s_cbranch_execz .LBB13_9
.LBB13_20:                              ;   Parent Loop BB13_11 Depth=1
                                        ; =>  This Loop Header: Depth=2
                                        ;       Child Loop BB13_22 Depth 3
	s_delay_alu instid0(VALU_DEP_1) | instskip(SKIP_1) | instid1(VALU_DEP_1)
	v_add_nc_u32_e32 v13, v14, v17
	s_mov_b32 s23, exec_lo
	v_ashrrev_i32_e32 v13, 1, v13
	s_clause 0x1
	global_load_b32 v15, v12, s[6:7] scale_offset
	global_load_b32 v18, v13, s[6:7] scale_offset
	s_wait_xcnt 0x0
	v_cmpx_lt_i32_e64 v14, v17
	s_cbranch_execz .LBB13_24
; %bb.21:                               ;   in Loop: Header=BB13_20 Depth=2
	v_mov_b32_e32 v19, v17
	s_mov_b32 s24, 0
.LBB13_22:                              ;   Parent Loop BB13_11 Depth=1
                                        ;     Parent Loop BB13_20 Depth=2
                                        ; =>    This Inner Loop Header: Depth=3
	s_wait_loadcnt 0x0
	v_cmp_lt_i32_e32 vcc_lo, v18, v15
	s_delay_alu instid0(VALU_DEP_2) | instskip(NEXT) | instid1(VALU_DEP_1)
	v_dual_cndmask_b32 v19, v13, v19 :: v_dual_add_nc_u32 v20, 1, v13
	v_cndmask_b32_e32 v14, v14, v20, vcc_lo
	s_delay_alu instid0(VALU_DEP_1) | instskip(NEXT) | instid1(VALU_DEP_1)
	v_add_nc_u32_e32 v13, v19, v14
	v_ashrrev_i32_e32 v13, 1, v13
	v_cmp_ge_i32_e32 vcc_lo, v14, v19
	global_load_b32 v18, v13, s[6:7] scale_offset
	s_or_b32 s24, vcc_lo, s24
	s_wait_xcnt 0x0
	s_and_not1_b32 exec_lo, exec_lo, s24
	s_cbranch_execnz .LBB13_22
; %bb.23:                               ;   in Loop: Header=BB13_20 Depth=2
	s_or_b32 exec_lo, exec_lo, s24
.LBB13_24:                              ;   in Loop: Header=BB13_20 Depth=2
	s_delay_alu instid0(SALU_CYCLE_1)
	s_or_b32 exec_lo, exec_lo, s23
	v_ashrrev_i32_e32 v13, 31, v12
	s_mov_b32 s23, exec_lo
	s_wait_loadcnt 0x0
	v_cmpx_eq_u32_e64 v18, v15
	s_cbranch_execz .LBB13_19
; %bb.25:                               ;   in Loop: Header=BB13_20 Depth=2
	v_lshl_add_u64 v[18:19], v[12:13], 3, s[8:9]
	s_clause 0x1
	global_load_b64 v[20:21], v[18:19], off
	global_load_b64 v[22:23], v14, s[8:9] scale_offset
	s_wait_loadcnt 0x0
	s_wait_xcnt 0x1
	v_fma_f64 v[18:19], -v[0:1], v[20:21], v[22:23]
	global_store_b64 v14, v[18:19], s[8:9] scale_offset
	s_branch .LBB13_19
.LBB13_26:
	s_or_b32 exec_lo, exec_lo, s2
	s_mov_b32 s4, -1
	s_mov_b32 s3, exec_lo
	s_wait_storecnt_dscnt 0x0
	v_cmpx_lt_i32_e32 -1, v8
	s_cbranch_execz .LBB13_42
; %bb.27:
	global_load_b64 v[0:1], v8, s[8:9] scale_offset
	v_cmp_eq_u32_e64 s2, 0, v16
	s_wait_loadcnt 0x0
	v_cmp_gt_f64_e32 vcc_lo, 0, v[0:1]
	v_xor_b32_e32 v9, 0x80000000, v1
	s_delay_alu instid0(VALU_DEP_1)
	v_dual_mov_b32 v10, v0 :: v_dual_cndmask_b32 v11, v1, v9
	s_and_not1_b32 vcc_lo, exec_lo, s29
	s_cbranch_vccnz .LBB13_31
; %bb.28:
	v_cvt_f64_f32_e32 v[12:13], s30
	s_cmp_eq_u64 s[20:21], 8
	s_cselect_b32 vcc_lo, -1, 0
	s_delay_alu instid0(VALU_DEP_1) | instskip(NEXT) | instid1(VALU_DEP_1)
	v_dual_cndmask_b32 v5, v13, v5 :: v_dual_cndmask_b32 v4, v12, v4
	v_cmp_le_f64_e32 vcc_lo, v[10:11], v[4:5]
	s_and_b32 s5, s2, vcc_lo
	s_delay_alu instid0(SALU_CYCLE_1)
	s_and_saveexec_b32 s4, s5
	s_cbranch_execz .LBB13_30
; %bb.29:
	v_mov_b32_e32 v9, 0
	s_delay_alu instid0(VALU_DEP_1)
	v_lshl_add_u64 v[4:5], v[8:9], 3, s[8:9]
	global_store_b64 v[4:5], v[6:7], off
.LBB13_30:
	s_wait_xcnt 0x0
	s_or_b32 exec_lo, exec_lo, s4
	s_mov_b32 s4, 0
.LBB13_31:
	s_delay_alu instid0(SALU_CYCLE_1)
	s_and_not1_b32 vcc_lo, exec_lo, s4
	s_cbranch_vccnz .LBB13_42
; %bb.32:
	s_load_b64 s[0:1], s[0:1], 0x48
	v_add_nc_u32_e32 v4, s28, v2
	s_wait_kmcnt 0x0
	v_cmp_ge_f64_e32 vcc_lo, s[0:1], v[10:11]
	s_and_b32 s1, s2, vcc_lo
	s_delay_alu instid0(SALU_CYCLE_1)
	s_and_saveexec_b32 s0, s1
	s_cbranch_execz .LBB13_37
; %bb.33:
	s_mov_b32 s4, exec_lo
	s_brev_b32 s1, -2
.LBB13_34:                              ; =>This Inner Loop Header: Depth=1
	s_ctz_i32_b32 s5, s4
	s_delay_alu instid0(SALU_CYCLE_1) | instskip(SKIP_1) | instid1(SALU_CYCLE_1)
	v_readlane_b32 s6, v4, s5
	s_lshl_b32 s5, 1, s5
	s_and_not1_b32 s4, s4, s5
	s_min_i32 s1, s1, s6
	s_cmp_lg_u32 s4, 0
	s_cbranch_scc1 .LBB13_34
; %bb.35:
	v_mbcnt_lo_u32_b32 v5, exec_lo, 0
	s_mov_b32 s4, exec_lo
	s_delay_alu instid0(VALU_DEP_1)
	v_cmpx_eq_u32_e32 0, v5
	s_xor_b32 s4, exec_lo, s4
	s_cbranch_execz .LBB13_37
; %bb.36:
	v_dual_mov_b32 v5, 0 :: v_dual_mov_b32 v6, s1
	global_atomic_min_i32 v5, v6, s[18:19] scope:SCOPE_DEV
.LBB13_37:
	s_wait_xcnt 0x0
	s_or_b32 exec_lo, exec_lo, s0
	v_cmp_eq_f64_e32 vcc_lo, 0, v[0:1]
	s_and_b32 s0, s2, vcc_lo
	s_delay_alu instid0(SALU_CYCLE_1)
	s_and_b32 exec_lo, exec_lo, s0
	s_cbranch_execz .LBB13_42
; %bb.38:
	s_mov_b32 s1, exec_lo
	s_brev_b32 s0, -2
.LBB13_39:                              ; =>This Inner Loop Header: Depth=1
	s_ctz_i32_b32 s2, s1
	s_delay_alu instid0(SALU_CYCLE_1) | instskip(SKIP_1) | instid1(SALU_CYCLE_1)
	v_readlane_b32 s4, v4, s2
	s_lshl_b32 s2, 1, s2
	s_and_not1_b32 s1, s1, s2
	s_min_i32 s0, s0, s4
	s_cmp_lg_u32 s1, 0
	s_cbranch_scc1 .LBB13_39
; %bb.40:
	v_mbcnt_lo_u32_b32 v0, exec_lo, 0
	s_mov_b32 s1, exec_lo
	s_delay_alu instid0(VALU_DEP_1)
	v_cmpx_eq_u32_e32 0, v0
	s_xor_b32 s1, exec_lo, s1
	s_cbranch_execz .LBB13_42
; %bb.41:
	v_dual_mov_b32 v0, 0 :: v_dual_mov_b32 v1, s0
	global_atomic_min_i32 v0, v1, s[16:17] scope:SCOPE_DEV
.LBB13_42:
	s_wait_xcnt 0x0
	s_or_b32 exec_lo, exec_lo, s3
	v_cmp_eq_u32_e32 vcc_lo, 0, v16
	global_wb scope:SCOPE_DEV
	s_wait_storecnt 0x0
	global_inv scope:SCOPE_DEV
	s_and_b32 exec_lo, exec_lo, vcc_lo
	s_cbranch_execz .LBB13_44
; %bb.43:
	v_lshl_add_u64 v[0:1], v[2:3], 2, s[12:13]
	v_mov_b32_e32 v2, 1
	global_wb scope:SCOPE_DEV
	s_wait_loadcnt 0x0
	s_wait_storecnt 0x0
	global_store_b32 v[0:1], v2, off scope:SCOPE_DEV
.LBB13_44:
	s_endpgm
	.section	.rodata,"a",@progbits
	.p2align	6, 0x0
	.amdhsa_kernel _ZN9rocsparseL17csrilu0_binsearchILj256ELj64ELb1EdEEviPKiS2_PT2_S2_PiS2_S5_S5_d21rocsparse_index_base_imNS_24const_host_device_scalarIfEENS7_IdEENS7_IS3_EEb
		.amdhsa_group_segment_fixed_size 0
		.amdhsa_private_segment_fixed_size 0
		.amdhsa_kernarg_size 124
		.amdhsa_user_sgpr_count 2
		.amdhsa_user_sgpr_dispatch_ptr 0
		.amdhsa_user_sgpr_queue_ptr 0
		.amdhsa_user_sgpr_kernarg_segment_ptr 1
		.amdhsa_user_sgpr_dispatch_id 0
		.amdhsa_user_sgpr_kernarg_preload_length 0
		.amdhsa_user_sgpr_kernarg_preload_offset 0
		.amdhsa_user_sgpr_private_segment_size 0
		.amdhsa_wavefront_size32 1
		.amdhsa_uses_dynamic_stack 0
		.amdhsa_enable_private_segment 0
		.amdhsa_system_sgpr_workgroup_id_x 1
		.amdhsa_system_sgpr_workgroup_id_y 0
		.amdhsa_system_sgpr_workgroup_id_z 0
		.amdhsa_system_sgpr_workgroup_info 0
		.amdhsa_system_vgpr_workitem_id 0
		.amdhsa_next_free_vgpr 28
		.amdhsa_next_free_sgpr 31
		.amdhsa_named_barrier_count 0
		.amdhsa_reserve_vcc 1
		.amdhsa_float_round_mode_32 0
		.amdhsa_float_round_mode_16_64 0
		.amdhsa_float_denorm_mode_32 3
		.amdhsa_float_denorm_mode_16_64 3
		.amdhsa_fp16_overflow 0
		.amdhsa_memory_ordered 1
		.amdhsa_forward_progress 1
		.amdhsa_inst_pref_size 14
		.amdhsa_round_robin_scheduling 0
		.amdhsa_exception_fp_ieee_invalid_op 0
		.amdhsa_exception_fp_denorm_src 0
		.amdhsa_exception_fp_ieee_div_zero 0
		.amdhsa_exception_fp_ieee_overflow 0
		.amdhsa_exception_fp_ieee_underflow 0
		.amdhsa_exception_fp_ieee_inexact 0
		.amdhsa_exception_int_div_zero 0
	.end_amdhsa_kernel
	.section	.text._ZN9rocsparseL17csrilu0_binsearchILj256ELj64ELb1EdEEviPKiS2_PT2_S2_PiS2_S5_S5_d21rocsparse_index_base_imNS_24const_host_device_scalarIfEENS7_IdEENS7_IS3_EEb,"axG",@progbits,_ZN9rocsparseL17csrilu0_binsearchILj256ELj64ELb1EdEEviPKiS2_PT2_S2_PiS2_S5_S5_d21rocsparse_index_base_imNS_24const_host_device_scalarIfEENS7_IdEENS7_IS3_EEb,comdat
.Lfunc_end13:
	.size	_ZN9rocsparseL17csrilu0_binsearchILj256ELj64ELb1EdEEviPKiS2_PT2_S2_PiS2_S5_S5_d21rocsparse_index_base_imNS_24const_host_device_scalarIfEENS7_IdEENS7_IS3_EEb, .Lfunc_end13-_ZN9rocsparseL17csrilu0_binsearchILj256ELj64ELb1EdEEviPKiS2_PT2_S2_PiS2_S5_S5_d21rocsparse_index_base_imNS_24const_host_device_scalarIfEENS7_IdEENS7_IS3_EEb
                                        ; -- End function
	.set _ZN9rocsparseL17csrilu0_binsearchILj256ELj64ELb1EdEEviPKiS2_PT2_S2_PiS2_S5_S5_d21rocsparse_index_base_imNS_24const_host_device_scalarIfEENS7_IdEENS7_IS3_EEb.num_vgpr, 28
	.set _ZN9rocsparseL17csrilu0_binsearchILj256ELj64ELb1EdEEviPKiS2_PT2_S2_PiS2_S5_S5_d21rocsparse_index_base_imNS_24const_host_device_scalarIfEENS7_IdEENS7_IS3_EEb.num_agpr, 0
	.set _ZN9rocsparseL17csrilu0_binsearchILj256ELj64ELb1EdEEviPKiS2_PT2_S2_PiS2_S5_S5_d21rocsparse_index_base_imNS_24const_host_device_scalarIfEENS7_IdEENS7_IS3_EEb.numbered_sgpr, 31
	.set _ZN9rocsparseL17csrilu0_binsearchILj256ELj64ELb1EdEEviPKiS2_PT2_S2_PiS2_S5_S5_d21rocsparse_index_base_imNS_24const_host_device_scalarIfEENS7_IdEENS7_IS3_EEb.num_named_barrier, 0
	.set _ZN9rocsparseL17csrilu0_binsearchILj256ELj64ELb1EdEEviPKiS2_PT2_S2_PiS2_S5_S5_d21rocsparse_index_base_imNS_24const_host_device_scalarIfEENS7_IdEENS7_IS3_EEb.private_seg_size, 0
	.set _ZN9rocsparseL17csrilu0_binsearchILj256ELj64ELb1EdEEviPKiS2_PT2_S2_PiS2_S5_S5_d21rocsparse_index_base_imNS_24const_host_device_scalarIfEENS7_IdEENS7_IS3_EEb.uses_vcc, 1
	.set _ZN9rocsparseL17csrilu0_binsearchILj256ELj64ELb1EdEEviPKiS2_PT2_S2_PiS2_S5_S5_d21rocsparse_index_base_imNS_24const_host_device_scalarIfEENS7_IdEENS7_IS3_EEb.uses_flat_scratch, 0
	.set _ZN9rocsparseL17csrilu0_binsearchILj256ELj64ELb1EdEEviPKiS2_PT2_S2_PiS2_S5_S5_d21rocsparse_index_base_imNS_24const_host_device_scalarIfEENS7_IdEENS7_IS3_EEb.has_dyn_sized_stack, 0
	.set _ZN9rocsparseL17csrilu0_binsearchILj256ELj64ELb1EdEEviPKiS2_PT2_S2_PiS2_S5_S5_d21rocsparse_index_base_imNS_24const_host_device_scalarIfEENS7_IdEENS7_IS3_EEb.has_recursion, 0
	.set _ZN9rocsparseL17csrilu0_binsearchILj256ELj64ELb1EdEEviPKiS2_PT2_S2_PiS2_S5_S5_d21rocsparse_index_base_imNS_24const_host_device_scalarIfEENS7_IdEENS7_IS3_EEb.has_indirect_call, 0
	.section	.AMDGPU.csdata,"",@progbits
; Kernel info:
; codeLenInByte = 1700
; TotalNumSgprs: 33
; NumVgprs: 28
; ScratchSize: 0
; MemoryBound: 0
; FloatMode: 240
; IeeeMode: 1
; LDSByteSize: 0 bytes/workgroup (compile time only)
; SGPRBlocks: 0
; VGPRBlocks: 1
; NumSGPRsForWavesPerEU: 33
; NumVGPRsForWavesPerEU: 28
; NamedBarCnt: 0
; Occupancy: 16
; WaveLimiterHint : 1
; COMPUTE_PGM_RSRC2:SCRATCH_EN: 0
; COMPUTE_PGM_RSRC2:USER_SGPR: 2
; COMPUTE_PGM_RSRC2:TRAP_HANDLER: 0
; COMPUTE_PGM_RSRC2:TGID_X_EN: 1
; COMPUTE_PGM_RSRC2:TGID_Y_EN: 0
; COMPUTE_PGM_RSRC2:TGID_Z_EN: 0
; COMPUTE_PGM_RSRC2:TIDIG_COMP_CNT: 0
	.section	.text._ZN9rocsparseL12csrilu0_hashILj256ELj32ELj1EdEEviPKiS2_PT2_S2_PiS2_S5_S5_d21rocsparse_index_base_imNS_24const_host_device_scalarIfEENS7_IdEENS7_IS3_EEb,"axG",@progbits,_ZN9rocsparseL12csrilu0_hashILj256ELj32ELj1EdEEviPKiS2_PT2_S2_PiS2_S5_S5_d21rocsparse_index_base_imNS_24const_host_device_scalarIfEENS7_IdEENS7_IS3_EEb,comdat
	.globl	_ZN9rocsparseL12csrilu0_hashILj256ELj32ELj1EdEEviPKiS2_PT2_S2_PiS2_S5_S5_d21rocsparse_index_base_imNS_24const_host_device_scalarIfEENS7_IdEENS7_IS3_EEb ; -- Begin function _ZN9rocsparseL12csrilu0_hashILj256ELj32ELj1EdEEviPKiS2_PT2_S2_PiS2_S5_S5_d21rocsparse_index_base_imNS_24const_host_device_scalarIfEENS7_IdEENS7_IS3_EEb
	.p2align	8
	.type	_ZN9rocsparseL12csrilu0_hashILj256ELj32ELj1EdEEviPKiS2_PT2_S2_PiS2_S5_S5_d21rocsparse_index_base_imNS_24const_host_device_scalarIfEENS7_IdEENS7_IS3_EEb,@function
_ZN9rocsparseL12csrilu0_hashILj256ELj32ELj1EdEEviPKiS2_PT2_S2_PiS2_S5_S5_d21rocsparse_index_base_imNS_24const_host_device_scalarIfEENS7_IdEENS7_IS3_EEb: ; @_ZN9rocsparseL12csrilu0_hashILj256ELj32ELj1EdEEviPKiS2_PT2_S2_PiS2_S5_S5_d21rocsparse_index_base_imNS_24const_host_device_scalarIfEENS7_IdEENS7_IS3_EEb
; %bb.0:
	s_clause 0x2
	s_load_b32 s2, s[0:1], 0x78
	s_load_b64 s[28:29], s[0:1], 0x50
	s_load_b256 s[20:27], s[0:1], 0x58
	s_wait_kmcnt 0x0
	s_bitcmp1_b32 s2, 0
	s_cselect_b32 s2, -1, 0
	s_cmp_eq_u32 s29, 0
	s_cselect_b32 s4, -1, 0
	s_cmp_lg_u32 s29, 0
	s_cselect_b32 s29, -1, 0
	s_or_b32 s6, s4, s2
	s_delay_alu instid0(SALU_CYCLE_1)
	s_xor_b32 s5, s6, -1
	s_and_b32 s2, s4, exec_lo
	s_cselect_b32 s3, 0, s25
	s_cselect_b32 s2, 0, s24
	;; [unrolled: 1-line block ×3, first 2 shown]
	s_and_b32 vcc_lo, exec_lo, s6
	s_cbranch_vccnz .LBB14_2
; %bb.1:
	s_load_b32 s30, s[22:23], 0x0
	s_mov_b64 s[2:3], s[24:25]
.LBB14_2:
	s_delay_alu instid0(SALU_CYCLE_1)
	v_mov_b64_e32 v[2:3], s[2:3]
	v_cndmask_b32_e64 v1, 0, 1, s5
	s_and_not1_b32 vcc_lo, exec_lo, s5
	s_cbranch_vccnz .LBB14_4
; %bb.3:
	v_mov_b32_e32 v2, 0
	flat_load_b64 v[2:3], v2, s[24:25]
.LBB14_4:
	s_and_b32 s2, s4, exec_lo
	s_cselect_b32 s3, 0, s27
	s_cselect_b32 s2, 0, s26
	v_cmp_ne_u32_e32 vcc_lo, 1, v1
	v_mov_b64_e32 v[4:5], s[2:3]
	s_cbranch_vccnz .LBB14_6
; %bb.5:
	v_mov_b32_e32 v1, 0
	flat_load_b64 v[4:5], v1, s[26:27]
.LBB14_6:
	s_load_b32 s2, s[0:1], 0x0
	s_bfe_u32 s3, ttmp6, 0x4000c
	s_and_b32 s4, ttmp6, 15
	s_add_co_i32 s3, s3, 1
	s_getreg_b32 s5, hwreg(HW_REG_IB_STS2, 6, 4)
	s_mul_i32 s3, ttmp9, s3
	v_and_b32_e32 v16, 31, v0
	s_add_co_i32 s4, s4, s3
	s_cmp_eq_u32 s5, 0
	v_and_b32_e32 v11, 0xe0, v0
	v_lshrrev_b32_e32 v0, 5, v0
	s_cselect_b32 s3, ttmp9, s4
	v_mov_b32_e32 v6, -1
	s_lshl_b32 s3, s3, 3
	v_lshl_or_b32 v7, v11, 2, 0x400
	v_and_or_b32 v0, 0x7fffff8, s3, v0
	s_delay_alu instid0(VALU_DEP_2) | instskip(SKIP_1) | instid1(VALU_DEP_2)
	v_lshl_or_b32 v1, v16, 2, v7
	s_wait_kmcnt 0x0
	v_cmp_gt_i32_e32 vcc_lo, s2, v0
	ds_store_b32 v1, v6
	s_wait_loadcnt_dscnt 0x0
	s_and_saveexec_b32 s2, vcc_lo
	s_cbranch_execz .LBB14_78
; %bb.7:
	s_load_b512 s[4:19], s[0:1], 0x8
	s_mov_b32 s2, exec_lo
	v_lshlrev_b32_e32 v17, 2, v11
	s_wait_kmcnt 0x0
	global_load_b32 v0, v0, s[14:15] scale_offset
	s_wait_loadcnt 0x0
	v_ashrrev_i32_e32 v1, 31, v0
	s_delay_alu instid0(VALU_DEP_1)
	v_lshl_add_u64 v[8:9], v[0:1], 2, s[4:5]
	global_load_b64 v[12:13], v[8:9], off
	global_load_b32 v6, v0, s[10:11] scale_offset
	s_wait_loadcnt 0x1
	s_wait_xcnt 0x1
	v_subrev_nc_u32_e32 v8, s28, v12
	v_subrev_nc_u32_e32 v9, s28, v13
	s_delay_alu instid0(VALU_DEP_2) | instskip(SKIP_1) | instid1(VALU_DEP_1)
	v_add_nc_u32_e32 v10, v8, v16
	s_wait_xcnt 0x0
	v_cmpx_lt_i32_e64 v10, v9
	s_cbranch_execz .LBB14_30
; %bb.8:
	v_mov_b32_e32 v11, -1
	s_mov_b32 s3, 0
	s_branch .LBB14_10
.LBB14_9:                               ;   in Loop: Header=BB14_10 Depth=1
	s_or_b32 exec_lo, exec_lo, s14
	v_add_nc_u32_e32 v10, 32, v10
	s_delay_alu instid0(VALU_DEP_1) | instskip(SKIP_1) | instid1(SALU_CYCLE_1)
	v_cmp_ge_i32_e32 vcc_lo, v10, v9
	s_or_b32 s3, vcc_lo, s3
	s_and_not1_b32 exec_lo, exec_lo, s3
	s_cbranch_execz .LBB14_30
.LBB14_10:                              ; =>This Loop Header: Depth=1
                                        ;     Child Loop BB14_19 Depth 2
	global_load_b32 v12, v10, s[6:7] scale_offset
	v_mov_b32_e32 v13, 32
	s_mov_b32 s14, 0
                                        ; implicit-def: $sgpr15
                                        ; implicit-def: $sgpr22
                                        ; implicit-def: $sgpr23
	s_wait_loadcnt 0x0
	v_mul_lo_u32 v15, v12, 7
	s_branch .LBB14_19
.LBB14_11:                              ;   in Loop: Header=BB14_19 Depth=2
	s_or_b32 exec_lo, exec_lo, s37
	s_delay_alu instid0(SALU_CYCLE_1)
	s_or_not1_b32 s35, s35, exec_lo
	s_or_not1_b32 s36, s36, exec_lo
.LBB14_12:                              ;   in Loop: Header=BB14_19 Depth=2
	s_or_b32 exec_lo, exec_lo, s34
	s_delay_alu instid0(SALU_CYCLE_1)
	s_and_b32 s35, s35, exec_lo
	s_or_not1_b32 s34, s36, exec_lo
.LBB14_13:                              ;   in Loop: Header=BB14_19 Depth=2
	s_or_b32 exec_lo, exec_lo, s33
	s_delay_alu instid0(SALU_CYCLE_1)
	s_or_not1_b32 s33, s35, exec_lo
	s_or_not1_b32 s34, s34, exec_lo
.LBB14_14:                              ;   in Loop: Header=BB14_19 Depth=2
	s_or_b32 exec_lo, exec_lo, s31
	s_delay_alu instid0(SALU_CYCLE_1)
	s_and_b32 s33, s33, exec_lo
	s_or_not1_b32 s31, s34, exec_lo
.LBB14_15:                              ;   in Loop: Header=BB14_19 Depth=2
	s_or_b32 exec_lo, exec_lo, s27
	s_delay_alu instid0(SALU_CYCLE_1)
	s_or_not1_b32 s27, s33, exec_lo
	s_or_not1_b32 s31, s31, exec_lo
.LBB14_16:                              ;   in Loop: Header=BB14_19 Depth=2
	s_or_b32 exec_lo, exec_lo, s26
	s_delay_alu instid0(SALU_CYCLE_1)
	s_and_b32 s27, s27, exec_lo
	s_or_not1_b32 s26, s31, exec_lo
.LBB14_17:                              ;   in Loop: Header=BB14_19 Depth=2
	s_or_b32 exec_lo, exec_lo, s25
	s_delay_alu instid0(SALU_CYCLE_1)
	s_and_not1_b32 s23, s23, exec_lo
	s_and_b32 s25, s27, exec_lo
	s_and_not1_b32 s22, s22, exec_lo
	s_and_b32 s26, s26, exec_lo
	s_or_b32 s23, s23, s25
	s_or_b32 s22, s22, s26
.LBB14_18:                              ;   in Loop: Header=BB14_19 Depth=2
	s_or_b32 exec_lo, exec_lo, s24
	s_delay_alu instid0(SALU_CYCLE_1) | instskip(NEXT) | instid1(SALU_CYCLE_1)
	s_and_b32 s24, exec_lo, s22
	s_or_b32 s14, s24, s14
	s_and_not1_b32 s15, s15, exec_lo
	s_and_b32 s24, s23, exec_lo
	s_delay_alu instid0(SALU_CYCLE_1)
	s_or_b32 s15, s15, s24
	s_and_not1_b32 exec_lo, exec_lo, s14
	s_cbranch_execz .LBB14_28
.LBB14_19:                              ;   Parent Loop BB14_10 Depth=1
                                        ; =>  This Inner Loop Header: Depth=2
	s_delay_alu instid0(VALU_DEP_1) | instskip(SKIP_3) | instid1(VALU_DEP_1)
	v_and_b32_e32 v14, 31, v15
	s_or_b32 s23, s23, exec_lo
	s_or_b32 s22, s22, exec_lo
	s_mov_b32 s24, exec_lo
	v_lshl_add_u32 v18, v14, 2, v7
	ds_load_b32 v19, v18
	s_wait_dscnt 0x0
	s_wait_xcnt 0x0
	v_cmpx_ne_u32_e64 v19, v12
	s_cbranch_execz .LBB14_18
; %bb.20:                               ;   in Loop: Header=BB14_19 Depth=2
	ds_cmpstore_rtn_b32 v18, v18, v12, v11
	s_mov_b32 s26, -1
	s_mov_b32 s27, 0
	s_mov_b32 s25, exec_lo
	s_wait_dscnt 0x0
	v_cmpx_ne_u32_e32 -1, v18
	s_cbranch_execz .LBB14_17
; %bb.21:                               ;   in Loop: Header=BB14_19 Depth=2
	v_add_nc_u32_e32 v14, 1, v15
	s_mov_b32 s31, -1
	s_mov_b32 s27, -1
	s_mov_b32 s26, exec_lo
	s_delay_alu instid0(VALU_DEP_1) | instskip(NEXT) | instid1(VALU_DEP_1)
	v_and_b32_e32 v14, 31, v14
	v_lshl_add_u32 v18, v14, 2, v7
	ds_load_b32 v19, v18
	s_wait_dscnt 0x0
	v_cmpx_ne_u32_e64 v19, v12
	s_cbranch_execz .LBB14_16
; %bb.22:                               ;   in Loop: Header=BB14_19 Depth=2
	ds_cmpstore_rtn_b32 v18, v18, v12, v11
	s_mov_b32 s33, 0
	s_mov_b32 s27, exec_lo
	s_wait_dscnt 0x0
	v_cmpx_ne_u32_e32 -1, v18
	s_cbranch_execz .LBB14_15
; %bb.23:                               ;   in Loop: Header=BB14_19 Depth=2
	v_add_nc_u32_e32 v14, 2, v15
	s_mov_b32 s34, -1
	s_mov_b32 s33, -1
	s_mov_b32 s31, exec_lo
	s_delay_alu instid0(VALU_DEP_1) | instskip(NEXT) | instid1(VALU_DEP_1)
	v_and_b32_e32 v14, 31, v14
	v_lshl_add_u32 v18, v14, 2, v7
	ds_load_b32 v19, v18
	s_wait_dscnt 0x0
	v_cmpx_ne_u32_e64 v19, v12
	s_cbranch_execz .LBB14_14
; %bb.24:                               ;   in Loop: Header=BB14_19 Depth=2
	ds_cmpstore_rtn_b32 v18, v18, v12, v11
	s_mov_b32 s35, 0
	s_mov_b32 s33, exec_lo
	s_wait_dscnt 0x0
	v_cmpx_ne_u32_e32 -1, v18
	s_cbranch_execz .LBB14_13
; %bb.25:                               ;   in Loop: Header=BB14_19 Depth=2
	v_add_nc_u32_e32 v14, 3, v15
	s_mov_b32 s36, -1
	s_mov_b32 s35, -1
	s_delay_alu instid0(VALU_DEP_1) | instskip(NEXT) | instid1(VALU_DEP_1)
	v_and_b32_e32 v14, 31, v14
	v_lshl_add_u32 v18, v14, 2, v7
	ds_load_b32 v15, v18
	s_wait_dscnt 0x0
	v_cmp_ne_u32_e32 vcc_lo, v15, v12
                                        ; implicit-def: $vgpr15
	s_and_saveexec_b32 s34, vcc_lo
	s_cbranch_execz .LBB14_12
; %bb.26:                               ;   in Loop: Header=BB14_19 Depth=2
	ds_cmpstore_rtn_b32 v15, v18, v12, v11
	s_mov_b32 s35, 0
	s_wait_dscnt 0x0
	v_cmp_ne_u32_e32 vcc_lo, -1, v15
                                        ; implicit-def: $vgpr15
	s_and_saveexec_b32 s37, vcc_lo
	s_cbranch_execz .LBB14_11
; %bb.27:                               ;   in Loop: Header=BB14_19 Depth=2
	v_dual_add_nc_u32 v13, -4, v13 :: v_dual_add_nc_u32 v15, 1, v14
	s_mov_b32 s35, exec_lo
	s_delay_alu instid0(VALU_DEP_1)
	v_cmp_eq_u32_e32 vcc_lo, 0, v13
	s_or_not1_b32 s36, vcc_lo, exec_lo
	s_branch .LBB14_11
.LBB14_28:                              ;   in Loop: Header=BB14_10 Depth=1
	s_or_b32 exec_lo, exec_lo, s14
	s_xor_b32 s14, s15, -1
	s_delay_alu instid0(SALU_CYCLE_1) | instskip(NEXT) | instid1(SALU_CYCLE_1)
	s_and_saveexec_b32 s15, s14
	s_xor_b32 s14, exec_lo, s15
	s_cbranch_execz .LBB14_9
; %bb.29:                               ;   in Loop: Header=BB14_10 Depth=1
	v_lshl_add_u32 v12, v14, 2, v17
	ds_store_b32 v12, v10
	s_branch .LBB14_9
.LBB14_30:
	s_or_b32 exec_lo, exec_lo, s2
	s_delay_alu instid0(SALU_CYCLE_1)
	s_mov_b32 s2, exec_lo
	s_wait_loadcnt_dscnt 0x0
	v_cmpx_lt_i32_e64 v8, v6
	s_cbranch_execz .LBB14_60
; %bb.31:
	v_add_nc_u32_e32 v18, 1, v16
	s_mov_b32 s3, 0
	s_branch .LBB14_34
.LBB14_32:                              ;   in Loop: Header=BB14_34 Depth=1
	s_or_b32 exec_lo, exec_lo, s15
	v_add_nc_u32_e32 v8, 1, v8
	s_delay_alu instid0(VALU_DEP_1)
	v_cmp_ge_i32_e32 vcc_lo, v8, v6
	s_or_not1_b32 s15, vcc_lo, exec_lo
.LBB14_33:                              ;   in Loop: Header=BB14_34 Depth=1
	s_or_b32 exec_lo, exec_lo, s14
	s_delay_alu instid0(SALU_CYCLE_1) | instskip(NEXT) | instid1(SALU_CYCLE_1)
	s_and_b32 s14, exec_lo, s15
	s_or_b32 s3, s14, s3
	s_delay_alu instid0(SALU_CYCLE_1)
	s_and_not1_b32 exec_lo, exec_lo, s3
	s_cbranch_execz .LBB14_60
.LBB14_34:                              ; =>This Loop Header: Depth=1
                                        ;     Child Loop BB14_35 Depth 2
                                        ;     Child Loop BB14_40 Depth 2
                                        ;       Child Loop BB14_49 Depth 3
	s_clause 0x1
	global_load_b32 v9, v8, s[6:7] scale_offset
	global_load_b64 v[10:11], v8, s[8:9] scale_offset
	s_mov_b32 s14, 0
	s_wait_loadcnt 0x1
	v_subrev_nc_u32_e32 v12, s28, v9
	v_ashrrev_i32_e32 v9, 31, v8
	s_clause 0x1
	global_load_b32 v20, v12, s[4:5] offset:4 scale_offset
	global_load_b32 v19, v12, s[10:11] scale_offset
	v_ashrrev_i32_e32 v13, 31, v12
	v_lshl_add_u64 v[14:15], v[8:9], 3, s[8:9]
	s_wait_xcnt 0x0
	s_delay_alu instid0(VALU_DEP_2)
	v_lshl_add_u64 v[12:13], v[12:13], 2, s[12:13]
.LBB14_35:                              ;   Parent Loop BB14_34 Depth=1
                                        ; =>  This Inner Loop Header: Depth=2
	global_load_b32 v9, v[12:13], off scope:SCOPE_DEV
	s_wait_loadcnt 0x0
	v_cmp_ne_u32_e32 vcc_lo, 0, v9
	s_or_b32 s14, vcc_lo, s14
	s_wait_xcnt 0x0
	s_and_not1_b32 exec_lo, exec_lo, s14
	s_cbranch_execnz .LBB14_35
; %bb.36:                               ;   in Loop: Header=BB14_34 Depth=1
	s_or_b32 exec_lo, exec_lo, s14
	v_subrev_nc_u32_e32 v9, s28, v20
	v_cmp_eq_u32_e32 vcc_lo, -1, v19
	global_inv scope:SCOPE_DEV
	s_mov_b32 s15, -1
	s_mov_b32 s14, exec_lo
	v_add_nc_u32_e32 v12, -1, v9
	s_delay_alu instid0(VALU_DEP_1)
	v_cndmask_b32_e32 v19, v19, v12, vcc_lo
	global_load_b64 v[12:13], v19, s[8:9] scale_offset
	s_wait_loadcnt 0x0
	s_wait_xcnt 0x0
	v_cmpx_neq_f64_e32 0, v[12:13]
	s_cbranch_execz .LBB14_33
; %bb.37:                               ;   in Loop: Header=BB14_34 Depth=1
	v_div_scale_f64 v[20:21], null, v[12:13], v[12:13], v[10:11]
	s_mov_b32 s15, exec_lo
	v_rcp_f64_e32 v[22:23], v[20:21]
	v_nop
	s_delay_alu instid0(TRANS32_DEP_1) | instskip(NEXT) | instid1(VALU_DEP_1)
	v_fma_f64 v[24:25], -v[20:21], v[22:23], 1.0
	v_fmac_f64_e32 v[22:23], v[22:23], v[24:25]
	s_delay_alu instid0(VALU_DEP_1) | instskip(NEXT) | instid1(VALU_DEP_1)
	v_fma_f64 v[24:25], -v[20:21], v[22:23], 1.0
	v_fmac_f64_e32 v[22:23], v[22:23], v[24:25]
	v_div_scale_f64 v[24:25], vcc_lo, v[10:11], v[12:13], v[10:11]
	s_delay_alu instid0(VALU_DEP_1) | instskip(NEXT) | instid1(VALU_DEP_1)
	v_mul_f64_e32 v[26:27], v[24:25], v[22:23]
	v_fma_f64 v[20:21], -v[20:21], v[26:27], v[24:25]
	s_delay_alu instid0(VALU_DEP_1) | instskip(NEXT) | instid1(VALU_DEP_1)
	v_div_fmas_f64 v[20:21], v[20:21], v[22:23], v[26:27]
	v_div_fixup_f64 v[10:11], v[20:21], v[12:13], v[10:11]
	v_add_nc_u32_e32 v12, v18, v19
	global_store_b64 v[14:15], v[10:11], off
	s_wait_xcnt 0x0
	v_cmpx_lt_i32_e64 v12, v9
	s_cbranch_execz .LBB14_32
; %bb.38:                               ;   in Loop: Header=BB14_34 Depth=1
	s_mov_b32 s22, 0
	s_branch .LBB14_40
.LBB14_39:                              ;   in Loop: Header=BB14_40 Depth=2
	s_wait_xcnt 0x0
	s_or_b32 exec_lo, exec_lo, s23
	v_add_nc_u32_e32 v12, 32, v12
	s_delay_alu instid0(VALU_DEP_1) | instskip(SKIP_1) | instid1(SALU_CYCLE_1)
	v_cmp_ge_i32_e32 vcc_lo, v12, v9
	s_or_b32 s22, vcc_lo, s22
	s_and_not1_b32 exec_lo, exec_lo, s22
	s_cbranch_execz .LBB14_32
.LBB14_40:                              ;   Parent Loop BB14_34 Depth=1
                                        ; =>  This Loop Header: Depth=2
                                        ;       Child Loop BB14_49 Depth 3
	global_load_b32 v14, v12, s[6:7] scale_offset
	v_dual_ashrrev_i32 v13, 31, v12 :: v_dual_mov_b32 v15, 32
	s_mov_b32 s23, 0
                                        ; implicit-def: $sgpr24
                                        ; implicit-def: $sgpr25
                                        ; implicit-def: $sgpr26
	s_wait_loadcnt 0x0
	v_mul_lo_u32 v20, v14, 7
	s_branch .LBB14_49
.LBB14_41:                              ;   in Loop: Header=BB14_49 Depth=3
	s_or_b32 exec_lo, exec_lo, s40
	s_delay_alu instid0(SALU_CYCLE_1)
	s_or_not1_b32 s38, s38, exec_lo
	s_or_not1_b32 s39, s39, exec_lo
.LBB14_42:                              ;   in Loop: Header=BB14_49 Depth=3
	s_or_b32 exec_lo, exec_lo, s37
	s_delay_alu instid0(SALU_CYCLE_1)
	s_and_b32 s38, s38, exec_lo
	s_or_not1_b32 s37, s39, exec_lo
.LBB14_43:                              ;   in Loop: Header=BB14_49 Depth=3
	s_or_b32 exec_lo, exec_lo, s36
	s_delay_alu instid0(SALU_CYCLE_1)
	s_or_not1_b32 s36, s38, exec_lo
	s_or_not1_b32 s37, s37, exec_lo
.LBB14_44:                              ;   in Loop: Header=BB14_49 Depth=3
	s_or_b32 exec_lo, exec_lo, s35
	s_delay_alu instid0(SALU_CYCLE_1)
	s_and_b32 s36, s36, exec_lo
	s_or_not1_b32 s35, s37, exec_lo
.LBB14_45:                              ;   in Loop: Header=BB14_49 Depth=3
	s_or_b32 exec_lo, exec_lo, s34
	s_delay_alu instid0(SALU_CYCLE_1)
	s_or_not1_b32 s34, s36, exec_lo
	s_or_not1_b32 s35, s35, exec_lo
.LBB14_46:                              ;   in Loop: Header=BB14_49 Depth=3
	s_or_b32 exec_lo, exec_lo, s33
	s_delay_alu instid0(SALU_CYCLE_1)
	s_and_b32 s34, s34, exec_lo
	s_or_not1_b32 s33, s35, exec_lo
.LBB14_47:                              ;   in Loop: Header=BB14_49 Depth=3
	s_or_b32 exec_lo, exec_lo, s31
	s_delay_alu instid0(SALU_CYCLE_1)
	s_and_not1_b32 s26, s26, exec_lo
	s_and_b32 s31, s34, exec_lo
	s_and_not1_b32 s25, s25, exec_lo
	s_and_b32 s33, s33, exec_lo
	s_or_b32 s26, s26, s31
	s_or_b32 s25, s25, s33
.LBB14_48:                              ;   in Loop: Header=BB14_49 Depth=3
	s_or_b32 exec_lo, exec_lo, s27
	s_delay_alu instid0(SALU_CYCLE_1) | instskip(NEXT) | instid1(SALU_CYCLE_1)
	s_and_b32 s27, exec_lo, s25
	s_or_b32 s23, s27, s23
	s_and_not1_b32 s24, s24, exec_lo
	s_and_b32 s27, s26, exec_lo
	s_delay_alu instid0(SALU_CYCLE_1)
	s_or_b32 s24, s24, s27
	s_and_not1_b32 exec_lo, exec_lo, s23
	s_cbranch_execz .LBB14_58
.LBB14_49:                              ;   Parent Loop BB14_34 Depth=1
                                        ;     Parent Loop BB14_40 Depth=2
                                        ; =>    This Inner Loop Header: Depth=3
	s_delay_alu instid0(VALU_DEP_1) | instskip(SKIP_3) | instid1(VALU_DEP_1)
	v_and_b32_e32 v19, 31, v20
	s_or_b32 s26, s26, exec_lo
	s_or_b32 s25, s25, exec_lo
	s_mov_b32 s27, exec_lo
	v_lshl_add_u32 v21, v19, 2, v7
	ds_load_b32 v21, v21
	s_wait_dscnt 0x0
	s_wait_xcnt 0x0
	v_cmpx_ne_u32_e32 -1, v21
	s_cbranch_execz .LBB14_48
; %bb.50:                               ;   in Loop: Header=BB14_49 Depth=3
	s_mov_b32 s33, -1
	s_mov_b32 s34, 0
	s_mov_b32 s31, exec_lo
	v_cmpx_ne_u32_e64 v21, v14
	s_cbranch_execz .LBB14_47
; %bb.51:                               ;   in Loop: Header=BB14_49 Depth=3
	v_add_nc_u32_e32 v19, 1, v20
	s_mov_b32 s35, -1
	s_mov_b32 s34, -1
	s_mov_b32 s33, exec_lo
	s_delay_alu instid0(VALU_DEP_1) | instskip(NEXT) | instid1(VALU_DEP_1)
	v_and_b32_e32 v19, 31, v19
	v_lshl_add_u32 v21, v19, 2, v7
	ds_load_b32 v21, v21
	s_wait_dscnt 0x0
	v_cmpx_ne_u32_e32 -1, v21
	s_cbranch_execz .LBB14_46
; %bb.52:                               ;   in Loop: Header=BB14_49 Depth=3
	s_mov_b32 s36, 0
	s_mov_b32 s34, exec_lo
	v_cmpx_ne_u32_e64 v21, v14
	s_cbranch_execz .LBB14_45
; %bb.53:                               ;   in Loop: Header=BB14_49 Depth=3
	v_add_nc_u32_e32 v19, 2, v20
	s_mov_b32 s37, -1
	s_mov_b32 s36, -1
	s_mov_b32 s35, exec_lo
	s_delay_alu instid0(VALU_DEP_1) | instskip(NEXT) | instid1(VALU_DEP_1)
	v_and_b32_e32 v19, 31, v19
	v_lshl_add_u32 v21, v19, 2, v7
	ds_load_b32 v21, v21
	s_wait_dscnt 0x0
	v_cmpx_ne_u32_e32 -1, v21
	s_cbranch_execz .LBB14_44
; %bb.54:                               ;   in Loop: Header=BB14_49 Depth=3
	s_mov_b32 s38, 0
	s_mov_b32 s36, exec_lo
	v_cmpx_ne_u32_e64 v21, v14
	s_cbranch_execz .LBB14_43
; %bb.55:                               ;   in Loop: Header=BB14_49 Depth=3
	v_add_nc_u32_e32 v19, 3, v20
	s_mov_b32 s39, -1
	s_mov_b32 s38, -1
	s_mov_b32 s37, exec_lo
	s_delay_alu instid0(VALU_DEP_1) | instskip(NEXT) | instid1(VALU_DEP_1)
	v_and_b32_e32 v19, 31, v19
	v_lshl_add_u32 v20, v19, 2, v7
	ds_load_b32 v21, v20
                                        ; implicit-def: $vgpr20
	s_wait_dscnt 0x0
	v_cmpx_ne_u32_e32 -1, v21
	s_cbranch_execz .LBB14_42
; %bb.56:                               ;   in Loop: Header=BB14_49 Depth=3
	s_mov_b32 s38, 0
	s_mov_b32 s40, exec_lo
                                        ; implicit-def: $vgpr20
	v_cmpx_ne_u32_e64 v21, v14
	s_cbranch_execz .LBB14_41
; %bb.57:                               ;   in Loop: Header=BB14_49 Depth=3
	v_add_nc_u32_e32 v15, -4, v15
	v_add_nc_u32_e32 v20, 1, v19
	s_mov_b32 s38, exec_lo
	s_delay_alu instid0(VALU_DEP_2)
	v_cmp_eq_u32_e32 vcc_lo, 0, v15
	s_or_not1_b32 s39, vcc_lo, exec_lo
	s_branch .LBB14_41
.LBB14_58:                              ;   in Loop: Header=BB14_40 Depth=2
	s_or_b32 exec_lo, exec_lo, s23
	s_xor_b32 s23, s24, -1
	s_delay_alu instid0(SALU_CYCLE_1) | instskip(NEXT) | instid1(SALU_CYCLE_1)
	s_and_saveexec_b32 s24, s23
	s_xor_b32 s23, exec_lo, s24
	s_cbranch_execz .LBB14_39
; %bb.59:                               ;   in Loop: Header=BB14_40 Depth=2
	v_lshl_add_u32 v14, v19, 2, v17
	ds_load_b32 v19, v14
	v_lshl_add_u64 v[14:15], v[12:13], 3, s[8:9]
	global_load_b64 v[20:21], v[14:15], off
	s_wait_dscnt 0x0
	global_load_b64 v[22:23], v19, s[8:9] scale_offset
	s_wait_loadcnt 0x0
	s_wait_xcnt 0x1
	v_fma_f64 v[14:15], -v[10:11], v[20:21], v[22:23]
	global_store_b64 v19, v[14:15], s[8:9] scale_offset
	s_branch .LBB14_39
.LBB14_60:
	s_or_b32 exec_lo, exec_lo, s2
	s_mov_b32 s4, -1
	s_mov_b32 s3, exec_lo
	s_wait_storecnt 0x0
	v_cmpx_lt_i32_e32 -1, v6
	s_cbranch_execz .LBB14_76
; %bb.61:
	global_load_b64 v[8:9], v6, s[8:9] scale_offset
	v_cmp_eq_u32_e64 s2, 0, v16
	s_wait_loadcnt 0x0
	v_cmp_gt_f64_e32 vcc_lo, 0, v[8:9]
	v_xor_b32_e32 v7, 0x80000000, v9
	s_delay_alu instid0(VALU_DEP_1)
	v_dual_mov_b32 v10, v8 :: v_dual_cndmask_b32 v11, v9, v7
	s_and_not1_b32 vcc_lo, exec_lo, s29
	s_cbranch_vccnz .LBB14_65
; %bb.62:
	v_cvt_f64_f32_e32 v[12:13], s30
	s_cmp_eq_u64 s[20:21], 8
	s_cselect_b32 vcc_lo, -1, 0
	s_delay_alu instid0(VALU_DEP_1) | instskip(NEXT) | instid1(VALU_DEP_1)
	v_dual_cndmask_b32 v3, v13, v3 :: v_dual_cndmask_b32 v2, v12, v2
	v_cmp_le_f64_e32 vcc_lo, v[10:11], v[2:3]
	s_and_b32 s5, s2, vcc_lo
	s_delay_alu instid0(SALU_CYCLE_1)
	s_and_saveexec_b32 s4, s5
	s_cbranch_execz .LBB14_64
; %bb.63:
	v_mov_b32_e32 v7, 0
	s_delay_alu instid0(VALU_DEP_1)
	v_lshl_add_u64 v[2:3], v[6:7], 3, s[8:9]
	global_store_b64 v[2:3], v[4:5], off
	global_wb scope:SCOPE_DEV
	s_wait_storecnt 0x0
	global_inv scope:SCOPE_DEV
.LBB14_64:
	s_wait_xcnt 0x0
	s_or_b32 exec_lo, exec_lo, s4
	s_mov_b32 s4, 0
.LBB14_65:
	s_delay_alu instid0(SALU_CYCLE_1)
	s_and_not1_b32 vcc_lo, exec_lo, s4
	s_cbranch_vccnz .LBB14_76
; %bb.66:
	s_load_b64 s[0:1], s[0:1], 0x48
	v_add_nc_u32_e32 v2, s28, v0
	s_wait_kmcnt 0x0
	v_cmp_ge_f64_e32 vcc_lo, s[0:1], v[10:11]
	s_and_b32 s1, s2, vcc_lo
	s_delay_alu instid0(SALU_CYCLE_1)
	s_and_saveexec_b32 s0, s1
	s_cbranch_execz .LBB14_71
; %bb.67:
	s_mov_b32 s4, exec_lo
	s_brev_b32 s1, -2
.LBB14_68:                              ; =>This Inner Loop Header: Depth=1
	s_ctz_i32_b32 s5, s4
	s_delay_alu instid0(SALU_CYCLE_1) | instskip(SKIP_1) | instid1(SALU_CYCLE_1)
	v_readlane_b32 s6, v2, s5
	s_lshl_b32 s5, 1, s5
	s_and_not1_b32 s4, s4, s5
	s_min_i32 s1, s1, s6
	s_cmp_lg_u32 s4, 0
	s_cbranch_scc1 .LBB14_68
; %bb.69:
	v_mbcnt_lo_u32_b32 v3, exec_lo, 0
	s_mov_b32 s4, exec_lo
	s_delay_alu instid0(VALU_DEP_1)
	v_cmpx_eq_u32_e32 0, v3
	s_xor_b32 s4, exec_lo, s4
	s_cbranch_execz .LBB14_71
; %bb.70:
	v_dual_mov_b32 v3, 0 :: v_dual_mov_b32 v4, s1
	global_atomic_min_i32 v3, v4, s[18:19] scope:SCOPE_DEV
.LBB14_71:
	s_wait_xcnt 0x0
	s_or_b32 exec_lo, exec_lo, s0
	v_cmp_eq_f64_e32 vcc_lo, 0, v[8:9]
	s_and_b32 s0, s2, vcc_lo
	s_delay_alu instid0(SALU_CYCLE_1)
	s_and_b32 exec_lo, exec_lo, s0
	s_cbranch_execz .LBB14_76
; %bb.72:
	s_mov_b32 s1, exec_lo
	s_brev_b32 s0, -2
.LBB14_73:                              ; =>This Inner Loop Header: Depth=1
	s_ctz_i32_b32 s2, s1
	s_delay_alu instid0(SALU_CYCLE_1) | instskip(SKIP_1) | instid1(SALU_CYCLE_1)
	v_readlane_b32 s4, v2, s2
	s_lshl_b32 s2, 1, s2
	s_and_not1_b32 s1, s1, s2
	s_min_i32 s0, s0, s4
	s_cmp_lg_u32 s1, 0
	s_cbranch_scc1 .LBB14_73
; %bb.74:
	v_mbcnt_lo_u32_b32 v2, exec_lo, 0
	s_mov_b32 s1, exec_lo
	s_delay_alu instid0(VALU_DEP_1)
	v_cmpx_eq_u32_e32 0, v2
	s_xor_b32 s1, exec_lo, s1
	s_cbranch_execz .LBB14_76
; %bb.75:
	v_dual_mov_b32 v2, 0 :: v_dual_mov_b32 v3, s0
	global_atomic_min_i32 v2, v3, s[16:17] scope:SCOPE_DEV
.LBB14_76:
	s_wait_xcnt 0x0
	s_or_b32 exec_lo, exec_lo, s3
	v_cmp_eq_u32_e32 vcc_lo, 0, v16
	global_wb scope:SCOPE_DEV
	s_wait_loadcnt 0x0
	s_wait_storecnt 0x0
	global_inv scope:SCOPE_DEV
	s_and_b32 exec_lo, exec_lo, vcc_lo
	s_cbranch_execz .LBB14_78
; %bb.77:
	v_lshl_add_u64 v[0:1], v[0:1], 2, s[12:13]
	v_mov_b32_e32 v2, 1
	global_wb scope:SCOPE_DEV
	s_wait_loadcnt 0x0
	s_wait_storecnt 0x0
	global_store_b32 v[0:1], v2, off scope:SCOPE_DEV
.LBB14_78:
	s_endpgm
	.section	.rodata,"a",@progbits
	.p2align	6, 0x0
	.amdhsa_kernel _ZN9rocsparseL12csrilu0_hashILj256ELj32ELj1EdEEviPKiS2_PT2_S2_PiS2_S5_S5_d21rocsparse_index_base_imNS_24const_host_device_scalarIfEENS7_IdEENS7_IS3_EEb
		.amdhsa_group_segment_fixed_size 2048
		.amdhsa_private_segment_fixed_size 0
		.amdhsa_kernarg_size 124
		.amdhsa_user_sgpr_count 2
		.amdhsa_user_sgpr_dispatch_ptr 0
		.amdhsa_user_sgpr_queue_ptr 0
		.amdhsa_user_sgpr_kernarg_segment_ptr 1
		.amdhsa_user_sgpr_dispatch_id 0
		.amdhsa_user_sgpr_kernarg_preload_length 0
		.amdhsa_user_sgpr_kernarg_preload_offset 0
		.amdhsa_user_sgpr_private_segment_size 0
		.amdhsa_wavefront_size32 1
		.amdhsa_uses_dynamic_stack 0
		.amdhsa_enable_private_segment 0
		.amdhsa_system_sgpr_workgroup_id_x 1
		.amdhsa_system_sgpr_workgroup_id_y 0
		.amdhsa_system_sgpr_workgroup_id_z 0
		.amdhsa_system_sgpr_workgroup_info 0
		.amdhsa_system_vgpr_workitem_id 0
		.amdhsa_next_free_vgpr 28
		.amdhsa_next_free_sgpr 41
		.amdhsa_named_barrier_count 0
		.amdhsa_reserve_vcc 1
		.amdhsa_float_round_mode_32 0
		.amdhsa_float_round_mode_16_64 0
		.amdhsa_float_denorm_mode_32 3
		.amdhsa_float_denorm_mode_16_64 3
		.amdhsa_fp16_overflow 0
		.amdhsa_memory_ordered 1
		.amdhsa_forward_progress 1
		.amdhsa_inst_pref_size 22
		.amdhsa_round_robin_scheduling 0
		.amdhsa_exception_fp_ieee_invalid_op 0
		.amdhsa_exception_fp_denorm_src 0
		.amdhsa_exception_fp_ieee_div_zero 0
		.amdhsa_exception_fp_ieee_overflow 0
		.amdhsa_exception_fp_ieee_underflow 0
		.amdhsa_exception_fp_ieee_inexact 0
		.amdhsa_exception_int_div_zero 0
	.end_amdhsa_kernel
	.section	.text._ZN9rocsparseL12csrilu0_hashILj256ELj32ELj1EdEEviPKiS2_PT2_S2_PiS2_S5_S5_d21rocsparse_index_base_imNS_24const_host_device_scalarIfEENS7_IdEENS7_IS3_EEb,"axG",@progbits,_ZN9rocsparseL12csrilu0_hashILj256ELj32ELj1EdEEviPKiS2_PT2_S2_PiS2_S5_S5_d21rocsparse_index_base_imNS_24const_host_device_scalarIfEENS7_IdEENS7_IS3_EEb,comdat
.Lfunc_end14:
	.size	_ZN9rocsparseL12csrilu0_hashILj256ELj32ELj1EdEEviPKiS2_PT2_S2_PiS2_S5_S5_d21rocsparse_index_base_imNS_24const_host_device_scalarIfEENS7_IdEENS7_IS3_EEb, .Lfunc_end14-_ZN9rocsparseL12csrilu0_hashILj256ELj32ELj1EdEEviPKiS2_PT2_S2_PiS2_S5_S5_d21rocsparse_index_base_imNS_24const_host_device_scalarIfEENS7_IdEENS7_IS3_EEb
                                        ; -- End function
	.set _ZN9rocsparseL12csrilu0_hashILj256ELj32ELj1EdEEviPKiS2_PT2_S2_PiS2_S5_S5_d21rocsparse_index_base_imNS_24const_host_device_scalarIfEENS7_IdEENS7_IS3_EEb.num_vgpr, 28
	.set _ZN9rocsparseL12csrilu0_hashILj256ELj32ELj1EdEEviPKiS2_PT2_S2_PiS2_S5_S5_d21rocsparse_index_base_imNS_24const_host_device_scalarIfEENS7_IdEENS7_IS3_EEb.num_agpr, 0
	.set _ZN9rocsparseL12csrilu0_hashILj256ELj32ELj1EdEEviPKiS2_PT2_S2_PiS2_S5_S5_d21rocsparse_index_base_imNS_24const_host_device_scalarIfEENS7_IdEENS7_IS3_EEb.numbered_sgpr, 41
	.set _ZN9rocsparseL12csrilu0_hashILj256ELj32ELj1EdEEviPKiS2_PT2_S2_PiS2_S5_S5_d21rocsparse_index_base_imNS_24const_host_device_scalarIfEENS7_IdEENS7_IS3_EEb.num_named_barrier, 0
	.set _ZN9rocsparseL12csrilu0_hashILj256ELj32ELj1EdEEviPKiS2_PT2_S2_PiS2_S5_S5_d21rocsparse_index_base_imNS_24const_host_device_scalarIfEENS7_IdEENS7_IS3_EEb.private_seg_size, 0
	.set _ZN9rocsparseL12csrilu0_hashILj256ELj32ELj1EdEEviPKiS2_PT2_S2_PiS2_S5_S5_d21rocsparse_index_base_imNS_24const_host_device_scalarIfEENS7_IdEENS7_IS3_EEb.uses_vcc, 1
	.set _ZN9rocsparseL12csrilu0_hashILj256ELj32ELj1EdEEviPKiS2_PT2_S2_PiS2_S5_S5_d21rocsparse_index_base_imNS_24const_host_device_scalarIfEENS7_IdEENS7_IS3_EEb.uses_flat_scratch, 0
	.set _ZN9rocsparseL12csrilu0_hashILj256ELj32ELj1EdEEviPKiS2_PT2_S2_PiS2_S5_S5_d21rocsparse_index_base_imNS_24const_host_device_scalarIfEENS7_IdEENS7_IS3_EEb.has_dyn_sized_stack, 0
	.set _ZN9rocsparseL12csrilu0_hashILj256ELj32ELj1EdEEviPKiS2_PT2_S2_PiS2_S5_S5_d21rocsparse_index_base_imNS_24const_host_device_scalarIfEENS7_IdEENS7_IS3_EEb.has_recursion, 0
	.set _ZN9rocsparseL12csrilu0_hashILj256ELj32ELj1EdEEviPKiS2_PT2_S2_PiS2_S5_S5_d21rocsparse_index_base_imNS_24const_host_device_scalarIfEENS7_IdEENS7_IS3_EEb.has_indirect_call, 0
	.section	.AMDGPU.csdata,"",@progbits
; Kernel info:
; codeLenInByte = 2744
; TotalNumSgprs: 43
; NumVgprs: 28
; ScratchSize: 0
; MemoryBound: 0
; FloatMode: 240
; IeeeMode: 1
; LDSByteSize: 2048 bytes/workgroup (compile time only)
; SGPRBlocks: 0
; VGPRBlocks: 1
; NumSGPRsForWavesPerEU: 43
; NumVGPRsForWavesPerEU: 28
; NamedBarCnt: 0
; Occupancy: 16
; WaveLimiterHint : 1
; COMPUTE_PGM_RSRC2:SCRATCH_EN: 0
; COMPUTE_PGM_RSRC2:USER_SGPR: 2
; COMPUTE_PGM_RSRC2:TRAP_HANDLER: 0
; COMPUTE_PGM_RSRC2:TGID_X_EN: 1
; COMPUTE_PGM_RSRC2:TGID_Y_EN: 0
; COMPUTE_PGM_RSRC2:TGID_Z_EN: 0
; COMPUTE_PGM_RSRC2:TIDIG_COMP_CNT: 0
	.section	.text._ZN9rocsparseL12csrilu0_hashILj256ELj32ELj2EdEEviPKiS2_PT2_S2_PiS2_S5_S5_d21rocsparse_index_base_imNS_24const_host_device_scalarIfEENS7_IdEENS7_IS3_EEb,"axG",@progbits,_ZN9rocsparseL12csrilu0_hashILj256ELj32ELj2EdEEviPKiS2_PT2_S2_PiS2_S5_S5_d21rocsparse_index_base_imNS_24const_host_device_scalarIfEENS7_IdEENS7_IS3_EEb,comdat
	.globl	_ZN9rocsparseL12csrilu0_hashILj256ELj32ELj2EdEEviPKiS2_PT2_S2_PiS2_S5_S5_d21rocsparse_index_base_imNS_24const_host_device_scalarIfEENS7_IdEENS7_IS3_EEb ; -- Begin function _ZN9rocsparseL12csrilu0_hashILj256ELj32ELj2EdEEviPKiS2_PT2_S2_PiS2_S5_S5_d21rocsparse_index_base_imNS_24const_host_device_scalarIfEENS7_IdEENS7_IS3_EEb
	.p2align	8
	.type	_ZN9rocsparseL12csrilu0_hashILj256ELj32ELj2EdEEviPKiS2_PT2_S2_PiS2_S5_S5_d21rocsparse_index_base_imNS_24const_host_device_scalarIfEENS7_IdEENS7_IS3_EEb,@function
_ZN9rocsparseL12csrilu0_hashILj256ELj32ELj2EdEEviPKiS2_PT2_S2_PiS2_S5_S5_d21rocsparse_index_base_imNS_24const_host_device_scalarIfEENS7_IdEENS7_IS3_EEb: ; @_ZN9rocsparseL12csrilu0_hashILj256ELj32ELj2EdEEviPKiS2_PT2_S2_PiS2_S5_S5_d21rocsparse_index_base_imNS_24const_host_device_scalarIfEENS7_IdEENS7_IS3_EEb
; %bb.0:
	s_clause 0x2
	s_load_b32 s2, s[0:1], 0x78
	s_load_b64 s[28:29], s[0:1], 0x50
	s_load_b256 s[20:27], s[0:1], 0x58
	s_wait_kmcnt 0x0
	s_bitcmp1_b32 s2, 0
	s_cselect_b32 s2, -1, 0
	s_cmp_eq_u32 s29, 0
	s_cselect_b32 s4, -1, 0
	s_cmp_lg_u32 s29, 0
	s_cselect_b32 s29, -1, 0
	s_or_b32 s6, s4, s2
	s_delay_alu instid0(SALU_CYCLE_1)
	s_xor_b32 s5, s6, -1
	s_and_b32 s2, s4, exec_lo
	s_cselect_b32 s3, 0, s25
	s_cselect_b32 s2, 0, s24
	;; [unrolled: 1-line block ×3, first 2 shown]
	s_and_b32 vcc_lo, exec_lo, s6
	s_cbranch_vccnz .LBB15_2
; %bb.1:
	s_load_b32 s30, s[22:23], 0x0
	s_mov_b64 s[2:3], s[24:25]
.LBB15_2:
	s_delay_alu instid0(SALU_CYCLE_1)
	v_mov_b64_e32 v[2:3], s[2:3]
	v_cndmask_b32_e64 v1, 0, 1, s5
	s_and_not1_b32 vcc_lo, exec_lo, s5
	s_cbranch_vccnz .LBB15_4
; %bb.3:
	v_mov_b32_e32 v2, 0
	flat_load_b64 v[2:3], v2, s[24:25]
.LBB15_4:
	s_and_b32 s2, s4, exec_lo
	s_cselect_b32 s3, 0, s27
	s_cselect_b32 s2, 0, s26
	v_cmp_ne_u32_e32 vcc_lo, 1, v1
	v_mov_b64_e32 v[4:5], s[2:3]
	s_cbranch_vccnz .LBB15_6
; %bb.5:
	v_mov_b32_e32 v1, 0
	flat_load_b64 v[4:5], v1, s[26:27]
.LBB15_6:
	s_load_b32 s2, s[0:1], 0x0
	s_bfe_u32 s3, ttmp6, 0x4000c
	v_dual_lshlrev_b32 v1, 1, v0 :: v_dual_bitop2_b32 v16, 31, v0 bitop3:0x40
	s_add_co_i32 s3, s3, 1
	s_and_b32 s4, ttmp6, 15
	s_mul_i32 s3, ttmp9, s3
	s_getreg_b32 s5, hwreg(HW_REG_IB_STS2, 6, 4)
	s_add_co_i32 s4, s4, s3
	s_cmp_eq_u32 s5, 0
	v_and_b32_e32 v11, 0x1c0, v1
	v_dual_lshrrev_b32 v0, 5, v0 :: v_dual_mov_b32 v6, -1
	s_cselect_b32 s3, ttmp9, s4
	s_delay_alu instid0(SALU_CYCLE_1) | instskip(NEXT) | instid1(VALU_DEP_2)
	s_lshl_b32 s3, s3, 3
	v_lshl_or_b32 v7, v11, 2, 0x800
	s_delay_alu instid0(VALU_DEP_2) | instskip(NEXT) | instid1(VALU_DEP_2)
	v_and_or_b32 v0, 0x7fffff8, s3, v0
	v_lshl_or_b32 v1, v16, 2, v7
	s_wait_kmcnt 0x0
	s_delay_alu instid0(VALU_DEP_2)
	v_cmp_gt_i32_e32 vcc_lo, s2, v0
	ds_store_2addr_b32 v1, v6, v6 offset1:32
	s_wait_loadcnt_dscnt 0x0
	s_and_saveexec_b32 s2, vcc_lo
	s_cbranch_execz .LBB15_78
; %bb.7:
	s_load_b512 s[4:19], s[0:1], 0x8
	s_mov_b32 s2, exec_lo
	v_lshlrev_b32_e32 v17, 2, v11
	s_wait_kmcnt 0x0
	global_load_b32 v0, v0, s[14:15] scale_offset
	s_wait_loadcnt 0x0
	v_ashrrev_i32_e32 v1, 31, v0
	s_delay_alu instid0(VALU_DEP_1)
	v_lshl_add_u64 v[8:9], v[0:1], 2, s[4:5]
	global_load_b64 v[12:13], v[8:9], off
	global_load_b32 v6, v0, s[10:11] scale_offset
	s_wait_loadcnt 0x1
	s_wait_xcnt 0x1
	v_subrev_nc_u32_e32 v8, s28, v12
	v_subrev_nc_u32_e32 v9, s28, v13
	s_delay_alu instid0(VALU_DEP_2) | instskip(SKIP_1) | instid1(VALU_DEP_1)
	v_add_nc_u32_e32 v10, v8, v16
	s_wait_xcnt 0x0
	v_cmpx_lt_i32_e64 v10, v9
	s_cbranch_execz .LBB15_30
; %bb.8:
	v_mov_b32_e32 v11, -1
	s_mov_b32 s3, 0
	s_branch .LBB15_10
.LBB15_9:                               ;   in Loop: Header=BB15_10 Depth=1
	s_or_b32 exec_lo, exec_lo, s14
	v_add_nc_u32_e32 v10, 32, v10
	s_delay_alu instid0(VALU_DEP_1) | instskip(SKIP_1) | instid1(SALU_CYCLE_1)
	v_cmp_ge_i32_e32 vcc_lo, v10, v9
	s_or_b32 s3, vcc_lo, s3
	s_and_not1_b32 exec_lo, exec_lo, s3
	s_cbranch_execz .LBB15_30
.LBB15_10:                              ; =>This Loop Header: Depth=1
                                        ;     Child Loop BB15_19 Depth 2
	global_load_b32 v12, v10, s[6:7] scale_offset
	v_mov_b32_e32 v13, 64
	s_mov_b32 s14, 0
                                        ; implicit-def: $sgpr15
                                        ; implicit-def: $sgpr22
                                        ; implicit-def: $sgpr23
	s_wait_loadcnt 0x0
	v_mul_lo_u32 v15, v12, 39
	s_branch .LBB15_19
.LBB15_11:                              ;   in Loop: Header=BB15_19 Depth=2
	s_or_b32 exec_lo, exec_lo, s37
	s_delay_alu instid0(SALU_CYCLE_1)
	s_or_not1_b32 s35, s35, exec_lo
	s_or_not1_b32 s36, s36, exec_lo
.LBB15_12:                              ;   in Loop: Header=BB15_19 Depth=2
	s_or_b32 exec_lo, exec_lo, s34
	s_delay_alu instid0(SALU_CYCLE_1)
	s_and_b32 s35, s35, exec_lo
	s_or_not1_b32 s34, s36, exec_lo
.LBB15_13:                              ;   in Loop: Header=BB15_19 Depth=2
	s_or_b32 exec_lo, exec_lo, s33
	s_delay_alu instid0(SALU_CYCLE_1)
	s_or_not1_b32 s33, s35, exec_lo
	s_or_not1_b32 s34, s34, exec_lo
.LBB15_14:                              ;   in Loop: Header=BB15_19 Depth=2
	s_or_b32 exec_lo, exec_lo, s31
	s_delay_alu instid0(SALU_CYCLE_1)
	s_and_b32 s33, s33, exec_lo
	s_or_not1_b32 s31, s34, exec_lo
.LBB15_15:                              ;   in Loop: Header=BB15_19 Depth=2
	s_or_b32 exec_lo, exec_lo, s27
	s_delay_alu instid0(SALU_CYCLE_1)
	s_or_not1_b32 s27, s33, exec_lo
	s_or_not1_b32 s31, s31, exec_lo
.LBB15_16:                              ;   in Loop: Header=BB15_19 Depth=2
	s_or_b32 exec_lo, exec_lo, s26
	s_delay_alu instid0(SALU_CYCLE_1)
	s_and_b32 s27, s27, exec_lo
	s_or_not1_b32 s26, s31, exec_lo
.LBB15_17:                              ;   in Loop: Header=BB15_19 Depth=2
	s_or_b32 exec_lo, exec_lo, s25
	s_delay_alu instid0(SALU_CYCLE_1)
	s_and_not1_b32 s23, s23, exec_lo
	s_and_b32 s25, s27, exec_lo
	s_and_not1_b32 s22, s22, exec_lo
	s_and_b32 s26, s26, exec_lo
	s_or_b32 s23, s23, s25
	s_or_b32 s22, s22, s26
.LBB15_18:                              ;   in Loop: Header=BB15_19 Depth=2
	s_or_b32 exec_lo, exec_lo, s24
	s_delay_alu instid0(SALU_CYCLE_1) | instskip(NEXT) | instid1(SALU_CYCLE_1)
	s_and_b32 s24, exec_lo, s22
	s_or_b32 s14, s24, s14
	s_and_not1_b32 s15, s15, exec_lo
	s_and_b32 s24, s23, exec_lo
	s_delay_alu instid0(SALU_CYCLE_1)
	s_or_b32 s15, s15, s24
	s_and_not1_b32 exec_lo, exec_lo, s14
	s_cbranch_execz .LBB15_28
.LBB15_19:                              ;   Parent Loop BB15_10 Depth=1
                                        ; =>  This Inner Loop Header: Depth=2
	s_delay_alu instid0(VALU_DEP_1) | instskip(SKIP_3) | instid1(VALU_DEP_1)
	v_and_b32_e32 v14, 63, v15
	s_or_b32 s23, s23, exec_lo
	s_or_b32 s22, s22, exec_lo
	s_mov_b32 s24, exec_lo
	v_lshl_add_u32 v18, v14, 2, v7
	ds_load_b32 v19, v18
	s_wait_dscnt 0x0
	s_wait_xcnt 0x0
	v_cmpx_ne_u32_e64 v19, v12
	s_cbranch_execz .LBB15_18
; %bb.20:                               ;   in Loop: Header=BB15_19 Depth=2
	ds_cmpstore_rtn_b32 v18, v18, v12, v11
	s_mov_b32 s26, -1
	s_mov_b32 s27, 0
	s_mov_b32 s25, exec_lo
	s_wait_dscnt 0x0
	v_cmpx_ne_u32_e32 -1, v18
	s_cbranch_execz .LBB15_17
; %bb.21:                               ;   in Loop: Header=BB15_19 Depth=2
	v_add_nc_u32_e32 v14, 1, v15
	s_mov_b32 s31, -1
	s_mov_b32 s27, -1
	s_mov_b32 s26, exec_lo
	s_delay_alu instid0(VALU_DEP_1) | instskip(NEXT) | instid1(VALU_DEP_1)
	v_and_b32_e32 v14, 63, v14
	v_lshl_add_u32 v18, v14, 2, v7
	ds_load_b32 v19, v18
	s_wait_dscnt 0x0
	v_cmpx_ne_u32_e64 v19, v12
	s_cbranch_execz .LBB15_16
; %bb.22:                               ;   in Loop: Header=BB15_19 Depth=2
	ds_cmpstore_rtn_b32 v18, v18, v12, v11
	s_mov_b32 s33, 0
	s_mov_b32 s27, exec_lo
	s_wait_dscnt 0x0
	v_cmpx_ne_u32_e32 -1, v18
	s_cbranch_execz .LBB15_15
; %bb.23:                               ;   in Loop: Header=BB15_19 Depth=2
	v_add_nc_u32_e32 v14, 2, v15
	s_mov_b32 s34, -1
	s_mov_b32 s33, -1
	s_mov_b32 s31, exec_lo
	s_delay_alu instid0(VALU_DEP_1) | instskip(NEXT) | instid1(VALU_DEP_1)
	v_and_b32_e32 v14, 63, v14
	v_lshl_add_u32 v18, v14, 2, v7
	ds_load_b32 v19, v18
	s_wait_dscnt 0x0
	v_cmpx_ne_u32_e64 v19, v12
	s_cbranch_execz .LBB15_14
; %bb.24:                               ;   in Loop: Header=BB15_19 Depth=2
	ds_cmpstore_rtn_b32 v18, v18, v12, v11
	s_mov_b32 s35, 0
	s_mov_b32 s33, exec_lo
	s_wait_dscnt 0x0
	v_cmpx_ne_u32_e32 -1, v18
	s_cbranch_execz .LBB15_13
; %bb.25:                               ;   in Loop: Header=BB15_19 Depth=2
	v_add_nc_u32_e32 v14, 3, v15
	s_mov_b32 s36, -1
	s_mov_b32 s35, -1
	s_delay_alu instid0(VALU_DEP_1) | instskip(NEXT) | instid1(VALU_DEP_1)
	v_and_b32_e32 v14, 63, v14
	v_lshl_add_u32 v18, v14, 2, v7
	ds_load_b32 v15, v18
	s_wait_dscnt 0x0
	v_cmp_ne_u32_e32 vcc_lo, v15, v12
                                        ; implicit-def: $vgpr15
	s_and_saveexec_b32 s34, vcc_lo
	s_cbranch_execz .LBB15_12
; %bb.26:                               ;   in Loop: Header=BB15_19 Depth=2
	ds_cmpstore_rtn_b32 v15, v18, v12, v11
	s_mov_b32 s35, 0
	s_wait_dscnt 0x0
	v_cmp_ne_u32_e32 vcc_lo, -1, v15
                                        ; implicit-def: $vgpr15
	s_and_saveexec_b32 s37, vcc_lo
	s_cbranch_execz .LBB15_11
; %bb.27:                               ;   in Loop: Header=BB15_19 Depth=2
	v_dual_add_nc_u32 v13, -4, v13 :: v_dual_add_nc_u32 v15, 1, v14
	s_mov_b32 s35, exec_lo
	s_delay_alu instid0(VALU_DEP_1)
	v_cmp_eq_u32_e32 vcc_lo, 0, v13
	s_or_not1_b32 s36, vcc_lo, exec_lo
	s_branch .LBB15_11
.LBB15_28:                              ;   in Loop: Header=BB15_10 Depth=1
	s_or_b32 exec_lo, exec_lo, s14
	s_xor_b32 s14, s15, -1
	s_delay_alu instid0(SALU_CYCLE_1) | instskip(NEXT) | instid1(SALU_CYCLE_1)
	s_and_saveexec_b32 s15, s14
	s_xor_b32 s14, exec_lo, s15
	s_cbranch_execz .LBB15_9
; %bb.29:                               ;   in Loop: Header=BB15_10 Depth=1
	v_lshl_add_u32 v12, v14, 2, v17
	ds_store_b32 v12, v10
	s_branch .LBB15_9
.LBB15_30:
	s_or_b32 exec_lo, exec_lo, s2
	s_delay_alu instid0(SALU_CYCLE_1)
	s_mov_b32 s2, exec_lo
	s_wait_loadcnt_dscnt 0x0
	v_cmpx_lt_i32_e64 v8, v6
	s_cbranch_execz .LBB15_60
; %bb.31:
	v_add_nc_u32_e32 v18, 1, v16
	s_mov_b32 s3, 0
	s_branch .LBB15_34
.LBB15_32:                              ;   in Loop: Header=BB15_34 Depth=1
	s_or_b32 exec_lo, exec_lo, s15
	v_add_nc_u32_e32 v8, 1, v8
	s_delay_alu instid0(VALU_DEP_1)
	v_cmp_ge_i32_e32 vcc_lo, v8, v6
	s_or_not1_b32 s15, vcc_lo, exec_lo
.LBB15_33:                              ;   in Loop: Header=BB15_34 Depth=1
	s_or_b32 exec_lo, exec_lo, s14
	s_delay_alu instid0(SALU_CYCLE_1) | instskip(NEXT) | instid1(SALU_CYCLE_1)
	s_and_b32 s14, exec_lo, s15
	s_or_b32 s3, s14, s3
	s_delay_alu instid0(SALU_CYCLE_1)
	s_and_not1_b32 exec_lo, exec_lo, s3
	s_cbranch_execz .LBB15_60
.LBB15_34:                              ; =>This Loop Header: Depth=1
                                        ;     Child Loop BB15_35 Depth 2
                                        ;     Child Loop BB15_40 Depth 2
                                        ;       Child Loop BB15_49 Depth 3
	s_clause 0x1
	global_load_b32 v9, v8, s[6:7] scale_offset
	global_load_b64 v[10:11], v8, s[8:9] scale_offset
	s_mov_b32 s14, 0
	s_wait_loadcnt 0x1
	v_subrev_nc_u32_e32 v12, s28, v9
	v_ashrrev_i32_e32 v9, 31, v8
	s_clause 0x1
	global_load_b32 v20, v12, s[4:5] offset:4 scale_offset
	global_load_b32 v19, v12, s[10:11] scale_offset
	v_ashrrev_i32_e32 v13, 31, v12
	v_lshl_add_u64 v[14:15], v[8:9], 3, s[8:9]
	s_wait_xcnt 0x0
	s_delay_alu instid0(VALU_DEP_2)
	v_lshl_add_u64 v[12:13], v[12:13], 2, s[12:13]
.LBB15_35:                              ;   Parent Loop BB15_34 Depth=1
                                        ; =>  This Inner Loop Header: Depth=2
	global_load_b32 v9, v[12:13], off scope:SCOPE_DEV
	s_wait_loadcnt 0x0
	v_cmp_ne_u32_e32 vcc_lo, 0, v9
	s_or_b32 s14, vcc_lo, s14
	s_wait_xcnt 0x0
	s_and_not1_b32 exec_lo, exec_lo, s14
	s_cbranch_execnz .LBB15_35
; %bb.36:                               ;   in Loop: Header=BB15_34 Depth=1
	s_or_b32 exec_lo, exec_lo, s14
	v_subrev_nc_u32_e32 v9, s28, v20
	v_cmp_eq_u32_e32 vcc_lo, -1, v19
	global_inv scope:SCOPE_DEV
	s_mov_b32 s15, -1
	s_mov_b32 s14, exec_lo
	v_add_nc_u32_e32 v12, -1, v9
	s_delay_alu instid0(VALU_DEP_1)
	v_cndmask_b32_e32 v19, v19, v12, vcc_lo
	global_load_b64 v[12:13], v19, s[8:9] scale_offset
	s_wait_loadcnt 0x0
	s_wait_xcnt 0x0
	v_cmpx_neq_f64_e32 0, v[12:13]
	s_cbranch_execz .LBB15_33
; %bb.37:                               ;   in Loop: Header=BB15_34 Depth=1
	v_div_scale_f64 v[20:21], null, v[12:13], v[12:13], v[10:11]
	s_mov_b32 s15, exec_lo
	v_rcp_f64_e32 v[22:23], v[20:21]
	v_nop
	s_delay_alu instid0(TRANS32_DEP_1) | instskip(NEXT) | instid1(VALU_DEP_1)
	v_fma_f64 v[24:25], -v[20:21], v[22:23], 1.0
	v_fmac_f64_e32 v[22:23], v[22:23], v[24:25]
	s_delay_alu instid0(VALU_DEP_1) | instskip(NEXT) | instid1(VALU_DEP_1)
	v_fma_f64 v[24:25], -v[20:21], v[22:23], 1.0
	v_fmac_f64_e32 v[22:23], v[22:23], v[24:25]
	v_div_scale_f64 v[24:25], vcc_lo, v[10:11], v[12:13], v[10:11]
	s_delay_alu instid0(VALU_DEP_1) | instskip(NEXT) | instid1(VALU_DEP_1)
	v_mul_f64_e32 v[26:27], v[24:25], v[22:23]
	v_fma_f64 v[20:21], -v[20:21], v[26:27], v[24:25]
	s_delay_alu instid0(VALU_DEP_1) | instskip(NEXT) | instid1(VALU_DEP_1)
	v_div_fmas_f64 v[20:21], v[20:21], v[22:23], v[26:27]
	v_div_fixup_f64 v[10:11], v[20:21], v[12:13], v[10:11]
	v_add_nc_u32_e32 v12, v18, v19
	global_store_b64 v[14:15], v[10:11], off
	s_wait_xcnt 0x0
	v_cmpx_lt_i32_e64 v12, v9
	s_cbranch_execz .LBB15_32
; %bb.38:                               ;   in Loop: Header=BB15_34 Depth=1
	s_mov_b32 s22, 0
	s_branch .LBB15_40
.LBB15_39:                              ;   in Loop: Header=BB15_40 Depth=2
	s_wait_xcnt 0x0
	s_or_b32 exec_lo, exec_lo, s23
	v_add_nc_u32_e32 v12, 32, v12
	s_delay_alu instid0(VALU_DEP_1) | instskip(SKIP_1) | instid1(SALU_CYCLE_1)
	v_cmp_ge_i32_e32 vcc_lo, v12, v9
	s_or_b32 s22, vcc_lo, s22
	s_and_not1_b32 exec_lo, exec_lo, s22
	s_cbranch_execz .LBB15_32
.LBB15_40:                              ;   Parent Loop BB15_34 Depth=1
                                        ; =>  This Loop Header: Depth=2
                                        ;       Child Loop BB15_49 Depth 3
	global_load_b32 v14, v12, s[6:7] scale_offset
	v_dual_ashrrev_i32 v13, 31, v12 :: v_dual_mov_b32 v15, 64
	s_mov_b32 s23, 0
                                        ; implicit-def: $sgpr24
                                        ; implicit-def: $sgpr25
                                        ; implicit-def: $sgpr26
	s_wait_loadcnt 0x0
	v_mul_lo_u32 v20, v14, 39
	s_branch .LBB15_49
.LBB15_41:                              ;   in Loop: Header=BB15_49 Depth=3
	s_or_b32 exec_lo, exec_lo, s40
	s_delay_alu instid0(SALU_CYCLE_1)
	s_or_not1_b32 s38, s38, exec_lo
	s_or_not1_b32 s39, s39, exec_lo
.LBB15_42:                              ;   in Loop: Header=BB15_49 Depth=3
	s_or_b32 exec_lo, exec_lo, s37
	s_delay_alu instid0(SALU_CYCLE_1)
	s_and_b32 s38, s38, exec_lo
	s_or_not1_b32 s37, s39, exec_lo
.LBB15_43:                              ;   in Loop: Header=BB15_49 Depth=3
	s_or_b32 exec_lo, exec_lo, s36
	s_delay_alu instid0(SALU_CYCLE_1)
	s_or_not1_b32 s36, s38, exec_lo
	s_or_not1_b32 s37, s37, exec_lo
.LBB15_44:                              ;   in Loop: Header=BB15_49 Depth=3
	s_or_b32 exec_lo, exec_lo, s35
	s_delay_alu instid0(SALU_CYCLE_1)
	s_and_b32 s36, s36, exec_lo
	s_or_not1_b32 s35, s37, exec_lo
.LBB15_45:                              ;   in Loop: Header=BB15_49 Depth=3
	s_or_b32 exec_lo, exec_lo, s34
	s_delay_alu instid0(SALU_CYCLE_1)
	s_or_not1_b32 s34, s36, exec_lo
	s_or_not1_b32 s35, s35, exec_lo
.LBB15_46:                              ;   in Loop: Header=BB15_49 Depth=3
	s_or_b32 exec_lo, exec_lo, s33
	s_delay_alu instid0(SALU_CYCLE_1)
	s_and_b32 s34, s34, exec_lo
	s_or_not1_b32 s33, s35, exec_lo
.LBB15_47:                              ;   in Loop: Header=BB15_49 Depth=3
	s_or_b32 exec_lo, exec_lo, s31
	s_delay_alu instid0(SALU_CYCLE_1)
	s_and_not1_b32 s26, s26, exec_lo
	s_and_b32 s31, s34, exec_lo
	s_and_not1_b32 s25, s25, exec_lo
	s_and_b32 s33, s33, exec_lo
	s_or_b32 s26, s26, s31
	s_or_b32 s25, s25, s33
.LBB15_48:                              ;   in Loop: Header=BB15_49 Depth=3
	s_or_b32 exec_lo, exec_lo, s27
	s_delay_alu instid0(SALU_CYCLE_1) | instskip(NEXT) | instid1(SALU_CYCLE_1)
	s_and_b32 s27, exec_lo, s25
	s_or_b32 s23, s27, s23
	s_and_not1_b32 s24, s24, exec_lo
	s_and_b32 s27, s26, exec_lo
	s_delay_alu instid0(SALU_CYCLE_1)
	s_or_b32 s24, s24, s27
	s_and_not1_b32 exec_lo, exec_lo, s23
	s_cbranch_execz .LBB15_58
.LBB15_49:                              ;   Parent Loop BB15_34 Depth=1
                                        ;     Parent Loop BB15_40 Depth=2
                                        ; =>    This Inner Loop Header: Depth=3
	s_delay_alu instid0(VALU_DEP_1) | instskip(SKIP_3) | instid1(VALU_DEP_1)
	v_and_b32_e32 v19, 63, v20
	s_or_b32 s26, s26, exec_lo
	s_or_b32 s25, s25, exec_lo
	s_mov_b32 s27, exec_lo
	v_lshl_add_u32 v21, v19, 2, v7
	ds_load_b32 v21, v21
	s_wait_dscnt 0x0
	s_wait_xcnt 0x0
	v_cmpx_ne_u32_e32 -1, v21
	s_cbranch_execz .LBB15_48
; %bb.50:                               ;   in Loop: Header=BB15_49 Depth=3
	s_mov_b32 s33, -1
	s_mov_b32 s34, 0
	s_mov_b32 s31, exec_lo
	v_cmpx_ne_u32_e64 v21, v14
	s_cbranch_execz .LBB15_47
; %bb.51:                               ;   in Loop: Header=BB15_49 Depth=3
	v_add_nc_u32_e32 v19, 1, v20
	s_mov_b32 s35, -1
	s_mov_b32 s34, -1
	s_mov_b32 s33, exec_lo
	s_delay_alu instid0(VALU_DEP_1) | instskip(NEXT) | instid1(VALU_DEP_1)
	v_and_b32_e32 v19, 63, v19
	v_lshl_add_u32 v21, v19, 2, v7
	ds_load_b32 v21, v21
	s_wait_dscnt 0x0
	v_cmpx_ne_u32_e32 -1, v21
	s_cbranch_execz .LBB15_46
; %bb.52:                               ;   in Loop: Header=BB15_49 Depth=3
	s_mov_b32 s36, 0
	s_mov_b32 s34, exec_lo
	v_cmpx_ne_u32_e64 v21, v14
	s_cbranch_execz .LBB15_45
; %bb.53:                               ;   in Loop: Header=BB15_49 Depth=3
	v_add_nc_u32_e32 v19, 2, v20
	s_mov_b32 s37, -1
	s_mov_b32 s36, -1
	s_mov_b32 s35, exec_lo
	s_delay_alu instid0(VALU_DEP_1) | instskip(NEXT) | instid1(VALU_DEP_1)
	v_and_b32_e32 v19, 63, v19
	v_lshl_add_u32 v21, v19, 2, v7
	ds_load_b32 v21, v21
	s_wait_dscnt 0x0
	v_cmpx_ne_u32_e32 -1, v21
	s_cbranch_execz .LBB15_44
; %bb.54:                               ;   in Loop: Header=BB15_49 Depth=3
	s_mov_b32 s38, 0
	s_mov_b32 s36, exec_lo
	v_cmpx_ne_u32_e64 v21, v14
	s_cbranch_execz .LBB15_43
; %bb.55:                               ;   in Loop: Header=BB15_49 Depth=3
	v_add_nc_u32_e32 v19, 3, v20
	s_mov_b32 s39, -1
	s_mov_b32 s38, -1
	s_mov_b32 s37, exec_lo
	s_delay_alu instid0(VALU_DEP_1) | instskip(NEXT) | instid1(VALU_DEP_1)
	v_and_b32_e32 v19, 63, v19
	v_lshl_add_u32 v20, v19, 2, v7
	ds_load_b32 v21, v20
                                        ; implicit-def: $vgpr20
	s_wait_dscnt 0x0
	v_cmpx_ne_u32_e32 -1, v21
	s_cbranch_execz .LBB15_42
; %bb.56:                               ;   in Loop: Header=BB15_49 Depth=3
	s_mov_b32 s38, 0
	s_mov_b32 s40, exec_lo
                                        ; implicit-def: $vgpr20
	v_cmpx_ne_u32_e64 v21, v14
	s_cbranch_execz .LBB15_41
; %bb.57:                               ;   in Loop: Header=BB15_49 Depth=3
	v_add_nc_u32_e32 v15, -4, v15
	v_add_nc_u32_e32 v20, 1, v19
	s_mov_b32 s38, exec_lo
	s_delay_alu instid0(VALU_DEP_2)
	v_cmp_eq_u32_e32 vcc_lo, 0, v15
	s_or_not1_b32 s39, vcc_lo, exec_lo
	s_branch .LBB15_41
.LBB15_58:                              ;   in Loop: Header=BB15_40 Depth=2
	s_or_b32 exec_lo, exec_lo, s23
	s_xor_b32 s23, s24, -1
	s_delay_alu instid0(SALU_CYCLE_1) | instskip(NEXT) | instid1(SALU_CYCLE_1)
	s_and_saveexec_b32 s24, s23
	s_xor_b32 s23, exec_lo, s24
	s_cbranch_execz .LBB15_39
; %bb.59:                               ;   in Loop: Header=BB15_40 Depth=2
	v_lshl_add_u32 v14, v19, 2, v17
	ds_load_b32 v19, v14
	v_lshl_add_u64 v[14:15], v[12:13], 3, s[8:9]
	global_load_b64 v[20:21], v[14:15], off
	s_wait_dscnt 0x0
	global_load_b64 v[22:23], v19, s[8:9] scale_offset
	s_wait_loadcnt 0x0
	s_wait_xcnt 0x1
	v_fma_f64 v[14:15], -v[10:11], v[20:21], v[22:23]
	global_store_b64 v19, v[14:15], s[8:9] scale_offset
	s_branch .LBB15_39
.LBB15_60:
	s_or_b32 exec_lo, exec_lo, s2
	s_mov_b32 s4, -1
	s_mov_b32 s3, exec_lo
	s_wait_storecnt 0x0
	v_cmpx_lt_i32_e32 -1, v6
	s_cbranch_execz .LBB15_76
; %bb.61:
	global_load_b64 v[8:9], v6, s[8:9] scale_offset
	v_cmp_eq_u32_e64 s2, 0, v16
	s_wait_loadcnt 0x0
	v_cmp_gt_f64_e32 vcc_lo, 0, v[8:9]
	v_xor_b32_e32 v7, 0x80000000, v9
	s_delay_alu instid0(VALU_DEP_1)
	v_dual_mov_b32 v10, v8 :: v_dual_cndmask_b32 v11, v9, v7
	s_and_not1_b32 vcc_lo, exec_lo, s29
	s_cbranch_vccnz .LBB15_65
; %bb.62:
	v_cvt_f64_f32_e32 v[12:13], s30
	s_cmp_eq_u64 s[20:21], 8
	s_cselect_b32 vcc_lo, -1, 0
	s_delay_alu instid0(VALU_DEP_1) | instskip(NEXT) | instid1(VALU_DEP_1)
	v_dual_cndmask_b32 v3, v13, v3 :: v_dual_cndmask_b32 v2, v12, v2
	v_cmp_le_f64_e32 vcc_lo, v[10:11], v[2:3]
	s_and_b32 s5, s2, vcc_lo
	s_delay_alu instid0(SALU_CYCLE_1)
	s_and_saveexec_b32 s4, s5
	s_cbranch_execz .LBB15_64
; %bb.63:
	v_mov_b32_e32 v7, 0
	s_delay_alu instid0(VALU_DEP_1)
	v_lshl_add_u64 v[2:3], v[6:7], 3, s[8:9]
	global_store_b64 v[2:3], v[4:5], off
	global_wb scope:SCOPE_DEV
	s_wait_storecnt 0x0
	global_inv scope:SCOPE_DEV
.LBB15_64:
	s_wait_xcnt 0x0
	s_or_b32 exec_lo, exec_lo, s4
	s_mov_b32 s4, 0
.LBB15_65:
	s_delay_alu instid0(SALU_CYCLE_1)
	s_and_not1_b32 vcc_lo, exec_lo, s4
	s_cbranch_vccnz .LBB15_76
; %bb.66:
	s_load_b64 s[0:1], s[0:1], 0x48
	v_add_nc_u32_e32 v2, s28, v0
	s_wait_kmcnt 0x0
	v_cmp_ge_f64_e32 vcc_lo, s[0:1], v[10:11]
	s_and_b32 s1, s2, vcc_lo
	s_delay_alu instid0(SALU_CYCLE_1)
	s_and_saveexec_b32 s0, s1
	s_cbranch_execz .LBB15_71
; %bb.67:
	s_mov_b32 s4, exec_lo
	s_brev_b32 s1, -2
.LBB15_68:                              ; =>This Inner Loop Header: Depth=1
	s_ctz_i32_b32 s5, s4
	s_delay_alu instid0(SALU_CYCLE_1) | instskip(SKIP_1) | instid1(SALU_CYCLE_1)
	v_readlane_b32 s6, v2, s5
	s_lshl_b32 s5, 1, s5
	s_and_not1_b32 s4, s4, s5
	s_min_i32 s1, s1, s6
	s_cmp_lg_u32 s4, 0
	s_cbranch_scc1 .LBB15_68
; %bb.69:
	v_mbcnt_lo_u32_b32 v3, exec_lo, 0
	s_mov_b32 s4, exec_lo
	s_delay_alu instid0(VALU_DEP_1)
	v_cmpx_eq_u32_e32 0, v3
	s_xor_b32 s4, exec_lo, s4
	s_cbranch_execz .LBB15_71
; %bb.70:
	v_dual_mov_b32 v3, 0 :: v_dual_mov_b32 v4, s1
	global_atomic_min_i32 v3, v4, s[18:19] scope:SCOPE_DEV
.LBB15_71:
	s_wait_xcnt 0x0
	s_or_b32 exec_lo, exec_lo, s0
	v_cmp_eq_f64_e32 vcc_lo, 0, v[8:9]
	s_and_b32 s0, s2, vcc_lo
	s_delay_alu instid0(SALU_CYCLE_1)
	s_and_b32 exec_lo, exec_lo, s0
	s_cbranch_execz .LBB15_76
; %bb.72:
	s_mov_b32 s1, exec_lo
	s_brev_b32 s0, -2
.LBB15_73:                              ; =>This Inner Loop Header: Depth=1
	s_ctz_i32_b32 s2, s1
	s_delay_alu instid0(SALU_CYCLE_1) | instskip(SKIP_1) | instid1(SALU_CYCLE_1)
	v_readlane_b32 s4, v2, s2
	s_lshl_b32 s2, 1, s2
	s_and_not1_b32 s1, s1, s2
	s_min_i32 s0, s0, s4
	s_cmp_lg_u32 s1, 0
	s_cbranch_scc1 .LBB15_73
; %bb.74:
	v_mbcnt_lo_u32_b32 v2, exec_lo, 0
	s_mov_b32 s1, exec_lo
	s_delay_alu instid0(VALU_DEP_1)
	v_cmpx_eq_u32_e32 0, v2
	s_xor_b32 s1, exec_lo, s1
	s_cbranch_execz .LBB15_76
; %bb.75:
	v_dual_mov_b32 v2, 0 :: v_dual_mov_b32 v3, s0
	global_atomic_min_i32 v2, v3, s[16:17] scope:SCOPE_DEV
.LBB15_76:
	s_wait_xcnt 0x0
	s_or_b32 exec_lo, exec_lo, s3
	v_cmp_eq_u32_e32 vcc_lo, 0, v16
	global_wb scope:SCOPE_DEV
	s_wait_loadcnt 0x0
	s_wait_storecnt 0x0
	global_inv scope:SCOPE_DEV
	s_and_b32 exec_lo, exec_lo, vcc_lo
	s_cbranch_execz .LBB15_78
; %bb.77:
	v_lshl_add_u64 v[0:1], v[0:1], 2, s[12:13]
	v_mov_b32_e32 v2, 1
	global_wb scope:SCOPE_DEV
	s_wait_loadcnt 0x0
	s_wait_storecnt 0x0
	global_store_b32 v[0:1], v2, off scope:SCOPE_DEV
.LBB15_78:
	s_endpgm
	.section	.rodata,"a",@progbits
	.p2align	6, 0x0
	.amdhsa_kernel _ZN9rocsparseL12csrilu0_hashILj256ELj32ELj2EdEEviPKiS2_PT2_S2_PiS2_S5_S5_d21rocsparse_index_base_imNS_24const_host_device_scalarIfEENS7_IdEENS7_IS3_EEb
		.amdhsa_group_segment_fixed_size 4096
		.amdhsa_private_segment_fixed_size 0
		.amdhsa_kernarg_size 124
		.amdhsa_user_sgpr_count 2
		.amdhsa_user_sgpr_dispatch_ptr 0
		.amdhsa_user_sgpr_queue_ptr 0
		.amdhsa_user_sgpr_kernarg_segment_ptr 1
		.amdhsa_user_sgpr_dispatch_id 0
		.amdhsa_user_sgpr_kernarg_preload_length 0
		.amdhsa_user_sgpr_kernarg_preload_offset 0
		.amdhsa_user_sgpr_private_segment_size 0
		.amdhsa_wavefront_size32 1
		.amdhsa_uses_dynamic_stack 0
		.amdhsa_enable_private_segment 0
		.amdhsa_system_sgpr_workgroup_id_x 1
		.amdhsa_system_sgpr_workgroup_id_y 0
		.amdhsa_system_sgpr_workgroup_id_z 0
		.amdhsa_system_sgpr_workgroup_info 0
		.amdhsa_system_vgpr_workitem_id 0
		.amdhsa_next_free_vgpr 28
		.amdhsa_next_free_sgpr 41
		.amdhsa_named_barrier_count 0
		.amdhsa_reserve_vcc 1
		.amdhsa_float_round_mode_32 0
		.amdhsa_float_round_mode_16_64 0
		.amdhsa_float_denorm_mode_32 3
		.amdhsa_float_denorm_mode_16_64 3
		.amdhsa_fp16_overflow 0
		.amdhsa_memory_ordered 1
		.amdhsa_forward_progress 1
		.amdhsa_inst_pref_size 22
		.amdhsa_round_robin_scheduling 0
		.amdhsa_exception_fp_ieee_invalid_op 0
		.amdhsa_exception_fp_denorm_src 0
		.amdhsa_exception_fp_ieee_div_zero 0
		.amdhsa_exception_fp_ieee_overflow 0
		.amdhsa_exception_fp_ieee_underflow 0
		.amdhsa_exception_fp_ieee_inexact 0
		.amdhsa_exception_int_div_zero 0
	.end_amdhsa_kernel
	.section	.text._ZN9rocsparseL12csrilu0_hashILj256ELj32ELj2EdEEviPKiS2_PT2_S2_PiS2_S5_S5_d21rocsparse_index_base_imNS_24const_host_device_scalarIfEENS7_IdEENS7_IS3_EEb,"axG",@progbits,_ZN9rocsparseL12csrilu0_hashILj256ELj32ELj2EdEEviPKiS2_PT2_S2_PiS2_S5_S5_d21rocsparse_index_base_imNS_24const_host_device_scalarIfEENS7_IdEENS7_IS3_EEb,comdat
.Lfunc_end15:
	.size	_ZN9rocsparseL12csrilu0_hashILj256ELj32ELj2EdEEviPKiS2_PT2_S2_PiS2_S5_S5_d21rocsparse_index_base_imNS_24const_host_device_scalarIfEENS7_IdEENS7_IS3_EEb, .Lfunc_end15-_ZN9rocsparseL12csrilu0_hashILj256ELj32ELj2EdEEviPKiS2_PT2_S2_PiS2_S5_S5_d21rocsparse_index_base_imNS_24const_host_device_scalarIfEENS7_IdEENS7_IS3_EEb
                                        ; -- End function
	.set _ZN9rocsparseL12csrilu0_hashILj256ELj32ELj2EdEEviPKiS2_PT2_S2_PiS2_S5_S5_d21rocsparse_index_base_imNS_24const_host_device_scalarIfEENS7_IdEENS7_IS3_EEb.num_vgpr, 28
	.set _ZN9rocsparseL12csrilu0_hashILj256ELj32ELj2EdEEviPKiS2_PT2_S2_PiS2_S5_S5_d21rocsparse_index_base_imNS_24const_host_device_scalarIfEENS7_IdEENS7_IS3_EEb.num_agpr, 0
	.set _ZN9rocsparseL12csrilu0_hashILj256ELj32ELj2EdEEviPKiS2_PT2_S2_PiS2_S5_S5_d21rocsparse_index_base_imNS_24const_host_device_scalarIfEENS7_IdEENS7_IS3_EEb.numbered_sgpr, 41
	.set _ZN9rocsparseL12csrilu0_hashILj256ELj32ELj2EdEEviPKiS2_PT2_S2_PiS2_S5_S5_d21rocsparse_index_base_imNS_24const_host_device_scalarIfEENS7_IdEENS7_IS3_EEb.num_named_barrier, 0
	.set _ZN9rocsparseL12csrilu0_hashILj256ELj32ELj2EdEEviPKiS2_PT2_S2_PiS2_S5_S5_d21rocsparse_index_base_imNS_24const_host_device_scalarIfEENS7_IdEENS7_IS3_EEb.private_seg_size, 0
	.set _ZN9rocsparseL12csrilu0_hashILj256ELj32ELj2EdEEviPKiS2_PT2_S2_PiS2_S5_S5_d21rocsparse_index_base_imNS_24const_host_device_scalarIfEENS7_IdEENS7_IS3_EEb.uses_vcc, 1
	.set _ZN9rocsparseL12csrilu0_hashILj256ELj32ELj2EdEEviPKiS2_PT2_S2_PiS2_S5_S5_d21rocsparse_index_base_imNS_24const_host_device_scalarIfEENS7_IdEENS7_IS3_EEb.uses_flat_scratch, 0
	.set _ZN9rocsparseL12csrilu0_hashILj256ELj32ELj2EdEEviPKiS2_PT2_S2_PiS2_S5_S5_d21rocsparse_index_base_imNS_24const_host_device_scalarIfEENS7_IdEENS7_IS3_EEb.has_dyn_sized_stack, 0
	.set _ZN9rocsparseL12csrilu0_hashILj256ELj32ELj2EdEEviPKiS2_PT2_S2_PiS2_S5_S5_d21rocsparse_index_base_imNS_24const_host_device_scalarIfEENS7_IdEENS7_IS3_EEb.has_recursion, 0
	.set _ZN9rocsparseL12csrilu0_hashILj256ELj32ELj2EdEEviPKiS2_PT2_S2_PiS2_S5_S5_d21rocsparse_index_base_imNS_24const_host_device_scalarIfEENS7_IdEENS7_IS3_EEb.has_indirect_call, 0
	.section	.AMDGPU.csdata,"",@progbits
; Kernel info:
; codeLenInByte = 2764
; TotalNumSgprs: 43
; NumVgprs: 28
; ScratchSize: 0
; MemoryBound: 0
; FloatMode: 240
; IeeeMode: 1
; LDSByteSize: 4096 bytes/workgroup (compile time only)
; SGPRBlocks: 0
; VGPRBlocks: 1
; NumSGPRsForWavesPerEU: 43
; NumVGPRsForWavesPerEU: 28
; NamedBarCnt: 0
; Occupancy: 16
; WaveLimiterHint : 1
; COMPUTE_PGM_RSRC2:SCRATCH_EN: 0
; COMPUTE_PGM_RSRC2:USER_SGPR: 2
; COMPUTE_PGM_RSRC2:TRAP_HANDLER: 0
; COMPUTE_PGM_RSRC2:TGID_X_EN: 1
; COMPUTE_PGM_RSRC2:TGID_Y_EN: 0
; COMPUTE_PGM_RSRC2:TGID_Z_EN: 0
; COMPUTE_PGM_RSRC2:TIDIG_COMP_CNT: 0
	.section	.text._ZN9rocsparseL12csrilu0_hashILj256ELj32ELj4EdEEviPKiS2_PT2_S2_PiS2_S5_S5_d21rocsparse_index_base_imNS_24const_host_device_scalarIfEENS7_IdEENS7_IS3_EEb,"axG",@progbits,_ZN9rocsparseL12csrilu0_hashILj256ELj32ELj4EdEEviPKiS2_PT2_S2_PiS2_S5_S5_d21rocsparse_index_base_imNS_24const_host_device_scalarIfEENS7_IdEENS7_IS3_EEb,comdat
	.globl	_ZN9rocsparseL12csrilu0_hashILj256ELj32ELj4EdEEviPKiS2_PT2_S2_PiS2_S5_S5_d21rocsparse_index_base_imNS_24const_host_device_scalarIfEENS7_IdEENS7_IS3_EEb ; -- Begin function _ZN9rocsparseL12csrilu0_hashILj256ELj32ELj4EdEEviPKiS2_PT2_S2_PiS2_S5_S5_d21rocsparse_index_base_imNS_24const_host_device_scalarIfEENS7_IdEENS7_IS3_EEb
	.p2align	8
	.type	_ZN9rocsparseL12csrilu0_hashILj256ELj32ELj4EdEEviPKiS2_PT2_S2_PiS2_S5_S5_d21rocsparse_index_base_imNS_24const_host_device_scalarIfEENS7_IdEENS7_IS3_EEb,@function
_ZN9rocsparseL12csrilu0_hashILj256ELj32ELj4EdEEviPKiS2_PT2_S2_PiS2_S5_S5_d21rocsparse_index_base_imNS_24const_host_device_scalarIfEENS7_IdEENS7_IS3_EEb: ; @_ZN9rocsparseL12csrilu0_hashILj256ELj32ELj4EdEEviPKiS2_PT2_S2_PiS2_S5_S5_d21rocsparse_index_base_imNS_24const_host_device_scalarIfEENS7_IdEENS7_IS3_EEb
; %bb.0:
	s_clause 0x2
	s_load_b32 s2, s[0:1], 0x78
	s_load_b64 s[28:29], s[0:1], 0x50
	s_load_b256 s[20:27], s[0:1], 0x58
	s_wait_kmcnt 0x0
	s_bitcmp1_b32 s2, 0
	s_cselect_b32 s2, -1, 0
	s_cmp_eq_u32 s29, 0
	s_cselect_b32 s4, -1, 0
	s_cmp_lg_u32 s29, 0
	s_cselect_b32 s29, -1, 0
	s_or_b32 s6, s4, s2
	s_delay_alu instid0(SALU_CYCLE_1)
	s_xor_b32 s5, s6, -1
	s_and_b32 s2, s4, exec_lo
	s_cselect_b32 s3, 0, s25
	s_cselect_b32 s2, 0, s24
	;; [unrolled: 1-line block ×3, first 2 shown]
	s_and_b32 vcc_lo, exec_lo, s6
	s_cbranch_vccnz .LBB16_2
; %bb.1:
	s_load_b32 s30, s[22:23], 0x0
	s_mov_b64 s[2:3], s[24:25]
.LBB16_2:
	s_delay_alu instid0(SALU_CYCLE_1)
	v_mov_b64_e32 v[2:3], s[2:3]
	v_cndmask_b32_e64 v1, 0, 1, s5
	s_and_not1_b32 vcc_lo, exec_lo, s5
	s_cbranch_vccnz .LBB16_4
; %bb.3:
	v_mov_b32_e32 v2, 0
	flat_load_b64 v[2:3], v2, s[24:25]
.LBB16_4:
	s_and_b32 s2, s4, exec_lo
	s_cselect_b32 s3, 0, s27
	s_cselect_b32 s2, 0, s26
	v_cmp_ne_u32_e32 vcc_lo, 1, v1
	v_mov_b64_e32 v[4:5], s[2:3]
	s_cbranch_vccnz .LBB16_6
; %bb.5:
	v_mov_b32_e32 v1, 0
	flat_load_b64 v[4:5], v1, s[26:27]
.LBB16_6:
	s_load_b32 s2, s[0:1], 0x0
	s_bfe_u32 s3, ttmp6, 0x4000c
	v_dual_lshlrev_b32 v1, 2, v0 :: v_dual_bitop2_b32 v16, 31, v0 bitop3:0x40
	s_add_co_i32 s3, s3, 1
	s_and_b32 s4, ttmp6, 15
	s_mul_i32 s3, ttmp9, s3
	s_getreg_b32 s5, hwreg(HW_REG_IB_STS2, 6, 4)
	s_add_co_i32 s4, s4, s3
	s_cmp_eq_u32 s5, 0
	v_and_b32_e32 v11, 0x380, v1
	v_dual_lshrrev_b32 v0, 5, v0 :: v_dual_mov_b32 v6, -1
	s_cselect_b32 s3, ttmp9, s4
	s_delay_alu instid0(SALU_CYCLE_1) | instskip(NEXT) | instid1(VALU_DEP_2)
	s_lshl_b32 s3, s3, 3
	v_lshl_or_b32 v7, v11, 2, 0x1000
	s_delay_alu instid0(VALU_DEP_2) | instskip(NEXT) | instid1(VALU_DEP_2)
	v_and_or_b32 v0, 0x7fffff8, s3, v0
	v_lshl_or_b32 v1, v16, 2, v7
	s_wait_kmcnt 0x0
	s_delay_alu instid0(VALU_DEP_2)
	v_cmp_gt_i32_e32 vcc_lo, s2, v0
	ds_store_2addr_b32 v1, v6, v6 offset1:32
	ds_store_2addr_b32 v1, v6, v6 offset0:64 offset1:96
	s_wait_loadcnt_dscnt 0x0
	s_and_saveexec_b32 s2, vcc_lo
	s_cbranch_execz .LBB16_78
; %bb.7:
	s_load_b512 s[4:19], s[0:1], 0x8
	s_mov_b32 s2, exec_lo
	v_lshlrev_b32_e32 v17, 2, v11
	s_wait_kmcnt 0x0
	global_load_b32 v0, v0, s[14:15] scale_offset
	s_wait_loadcnt 0x0
	v_ashrrev_i32_e32 v1, 31, v0
	s_delay_alu instid0(VALU_DEP_1)
	v_lshl_add_u64 v[8:9], v[0:1], 2, s[4:5]
	global_load_b64 v[12:13], v[8:9], off
	global_load_b32 v6, v0, s[10:11] scale_offset
	s_wait_loadcnt 0x1
	s_wait_xcnt 0x1
	v_subrev_nc_u32_e32 v8, s28, v12
	v_subrev_nc_u32_e32 v9, s28, v13
	s_delay_alu instid0(VALU_DEP_2) | instskip(SKIP_1) | instid1(VALU_DEP_1)
	v_add_nc_u32_e32 v10, v8, v16
	s_wait_xcnt 0x0
	v_cmpx_lt_i32_e64 v10, v9
	s_cbranch_execz .LBB16_30
; %bb.8:
	v_mov_b32_e32 v11, -1
	s_mov_b32 s3, 0
	s_branch .LBB16_10
.LBB16_9:                               ;   in Loop: Header=BB16_10 Depth=1
	s_or_b32 exec_lo, exec_lo, s14
	v_add_nc_u32_e32 v10, 32, v10
	s_delay_alu instid0(VALU_DEP_1) | instskip(SKIP_1) | instid1(SALU_CYCLE_1)
	v_cmp_ge_i32_e32 vcc_lo, v10, v9
	s_or_b32 s3, vcc_lo, s3
	s_and_not1_b32 exec_lo, exec_lo, s3
	s_cbranch_execz .LBB16_30
.LBB16_10:                              ; =>This Loop Header: Depth=1
                                        ;     Child Loop BB16_19 Depth 2
	global_load_b32 v12, v10, s[6:7] scale_offset
	v_mov_b32_e32 v13, 0x80
	s_mov_b32 s14, 0
                                        ; implicit-def: $sgpr15
                                        ; implicit-def: $sgpr22
                                        ; implicit-def: $sgpr23
	s_wait_loadcnt 0x0
	v_mul_lo_u32 v15, 0x67, v12
	s_branch .LBB16_19
.LBB16_11:                              ;   in Loop: Header=BB16_19 Depth=2
	s_or_b32 exec_lo, exec_lo, s37
	s_delay_alu instid0(SALU_CYCLE_1)
	s_or_not1_b32 s35, s35, exec_lo
	s_or_not1_b32 s36, s36, exec_lo
.LBB16_12:                              ;   in Loop: Header=BB16_19 Depth=2
	s_or_b32 exec_lo, exec_lo, s34
	s_delay_alu instid0(SALU_CYCLE_1)
	s_and_b32 s35, s35, exec_lo
	s_or_not1_b32 s34, s36, exec_lo
.LBB16_13:                              ;   in Loop: Header=BB16_19 Depth=2
	s_or_b32 exec_lo, exec_lo, s33
	s_delay_alu instid0(SALU_CYCLE_1)
	s_or_not1_b32 s33, s35, exec_lo
	s_or_not1_b32 s34, s34, exec_lo
.LBB16_14:                              ;   in Loop: Header=BB16_19 Depth=2
	s_or_b32 exec_lo, exec_lo, s31
	s_delay_alu instid0(SALU_CYCLE_1)
	s_and_b32 s33, s33, exec_lo
	s_or_not1_b32 s31, s34, exec_lo
.LBB16_15:                              ;   in Loop: Header=BB16_19 Depth=2
	s_or_b32 exec_lo, exec_lo, s27
	s_delay_alu instid0(SALU_CYCLE_1)
	s_or_not1_b32 s27, s33, exec_lo
	s_or_not1_b32 s31, s31, exec_lo
.LBB16_16:                              ;   in Loop: Header=BB16_19 Depth=2
	s_or_b32 exec_lo, exec_lo, s26
	s_delay_alu instid0(SALU_CYCLE_1)
	s_and_b32 s27, s27, exec_lo
	s_or_not1_b32 s26, s31, exec_lo
.LBB16_17:                              ;   in Loop: Header=BB16_19 Depth=2
	s_or_b32 exec_lo, exec_lo, s25
	s_delay_alu instid0(SALU_CYCLE_1)
	s_and_not1_b32 s23, s23, exec_lo
	s_and_b32 s25, s27, exec_lo
	s_and_not1_b32 s22, s22, exec_lo
	s_and_b32 s26, s26, exec_lo
	s_or_b32 s23, s23, s25
	s_or_b32 s22, s22, s26
.LBB16_18:                              ;   in Loop: Header=BB16_19 Depth=2
	s_or_b32 exec_lo, exec_lo, s24
	s_delay_alu instid0(SALU_CYCLE_1) | instskip(NEXT) | instid1(SALU_CYCLE_1)
	s_and_b32 s24, exec_lo, s22
	s_or_b32 s14, s24, s14
	s_and_not1_b32 s15, s15, exec_lo
	s_and_b32 s24, s23, exec_lo
	s_delay_alu instid0(SALU_CYCLE_1)
	s_or_b32 s15, s15, s24
	s_and_not1_b32 exec_lo, exec_lo, s14
	s_cbranch_execz .LBB16_28
.LBB16_19:                              ;   Parent Loop BB16_10 Depth=1
                                        ; =>  This Inner Loop Header: Depth=2
	s_delay_alu instid0(VALU_DEP_1) | instskip(SKIP_3) | instid1(VALU_DEP_1)
	v_and_b32_e32 v14, 0x7f, v15
	s_or_b32 s23, s23, exec_lo
	s_or_b32 s22, s22, exec_lo
	s_mov_b32 s24, exec_lo
	v_lshl_add_u32 v18, v14, 2, v7
	ds_load_b32 v19, v18
	s_wait_dscnt 0x0
	s_wait_xcnt 0x0
	v_cmpx_ne_u32_e64 v19, v12
	s_cbranch_execz .LBB16_18
; %bb.20:                               ;   in Loop: Header=BB16_19 Depth=2
	ds_cmpstore_rtn_b32 v18, v18, v12, v11
	s_mov_b32 s26, -1
	s_mov_b32 s27, 0
	s_mov_b32 s25, exec_lo
	s_wait_dscnt 0x0
	v_cmpx_ne_u32_e32 -1, v18
	s_cbranch_execz .LBB16_17
; %bb.21:                               ;   in Loop: Header=BB16_19 Depth=2
	v_add_nc_u32_e32 v14, 1, v15
	s_mov_b32 s31, -1
	s_mov_b32 s27, -1
	s_mov_b32 s26, exec_lo
	s_delay_alu instid0(VALU_DEP_1) | instskip(NEXT) | instid1(VALU_DEP_1)
	v_and_b32_e32 v14, 0x7f, v14
	v_lshl_add_u32 v18, v14, 2, v7
	ds_load_b32 v19, v18
	s_wait_dscnt 0x0
	v_cmpx_ne_u32_e64 v19, v12
	s_cbranch_execz .LBB16_16
; %bb.22:                               ;   in Loop: Header=BB16_19 Depth=2
	ds_cmpstore_rtn_b32 v18, v18, v12, v11
	s_mov_b32 s33, 0
	s_mov_b32 s27, exec_lo
	s_wait_dscnt 0x0
	v_cmpx_ne_u32_e32 -1, v18
	s_cbranch_execz .LBB16_15
; %bb.23:                               ;   in Loop: Header=BB16_19 Depth=2
	v_add_nc_u32_e32 v14, 2, v15
	s_mov_b32 s34, -1
	s_mov_b32 s33, -1
	s_mov_b32 s31, exec_lo
	s_delay_alu instid0(VALU_DEP_1) | instskip(NEXT) | instid1(VALU_DEP_1)
	v_and_b32_e32 v14, 0x7f, v14
	v_lshl_add_u32 v18, v14, 2, v7
	ds_load_b32 v19, v18
	s_wait_dscnt 0x0
	v_cmpx_ne_u32_e64 v19, v12
	s_cbranch_execz .LBB16_14
; %bb.24:                               ;   in Loop: Header=BB16_19 Depth=2
	ds_cmpstore_rtn_b32 v18, v18, v12, v11
	s_mov_b32 s35, 0
	s_mov_b32 s33, exec_lo
	s_wait_dscnt 0x0
	v_cmpx_ne_u32_e32 -1, v18
	s_cbranch_execz .LBB16_13
; %bb.25:                               ;   in Loop: Header=BB16_19 Depth=2
	v_add_nc_u32_e32 v14, 3, v15
	s_mov_b32 s36, -1
	s_mov_b32 s35, -1
	s_delay_alu instid0(VALU_DEP_1) | instskip(NEXT) | instid1(VALU_DEP_1)
	v_and_b32_e32 v14, 0x7f, v14
	v_lshl_add_u32 v18, v14, 2, v7
	ds_load_b32 v15, v18
	s_wait_dscnt 0x0
	v_cmp_ne_u32_e32 vcc_lo, v15, v12
                                        ; implicit-def: $vgpr15
	s_and_saveexec_b32 s34, vcc_lo
	s_cbranch_execz .LBB16_12
; %bb.26:                               ;   in Loop: Header=BB16_19 Depth=2
	ds_cmpstore_rtn_b32 v15, v18, v12, v11
	s_mov_b32 s35, 0
	s_wait_dscnt 0x0
	v_cmp_ne_u32_e32 vcc_lo, -1, v15
                                        ; implicit-def: $vgpr15
	s_and_saveexec_b32 s37, vcc_lo
	s_cbranch_execz .LBB16_11
; %bb.27:                               ;   in Loop: Header=BB16_19 Depth=2
	v_dual_add_nc_u32 v13, -4, v13 :: v_dual_add_nc_u32 v15, 1, v14
	s_mov_b32 s35, exec_lo
	s_delay_alu instid0(VALU_DEP_1)
	v_cmp_eq_u32_e32 vcc_lo, 0, v13
	s_or_not1_b32 s36, vcc_lo, exec_lo
	s_branch .LBB16_11
.LBB16_28:                              ;   in Loop: Header=BB16_10 Depth=1
	s_or_b32 exec_lo, exec_lo, s14
	s_xor_b32 s14, s15, -1
	s_delay_alu instid0(SALU_CYCLE_1) | instskip(NEXT) | instid1(SALU_CYCLE_1)
	s_and_saveexec_b32 s15, s14
	s_xor_b32 s14, exec_lo, s15
	s_cbranch_execz .LBB16_9
; %bb.29:                               ;   in Loop: Header=BB16_10 Depth=1
	v_lshl_add_u32 v12, v14, 2, v17
	ds_store_b32 v12, v10
	s_branch .LBB16_9
.LBB16_30:
	s_or_b32 exec_lo, exec_lo, s2
	s_delay_alu instid0(SALU_CYCLE_1)
	s_mov_b32 s2, exec_lo
	s_wait_loadcnt_dscnt 0x0
	v_cmpx_lt_i32_e64 v8, v6
	s_cbranch_execz .LBB16_60
; %bb.31:
	v_add_nc_u32_e32 v18, 1, v16
	s_mov_b32 s3, 0
	s_branch .LBB16_34
.LBB16_32:                              ;   in Loop: Header=BB16_34 Depth=1
	s_or_b32 exec_lo, exec_lo, s15
	v_add_nc_u32_e32 v8, 1, v8
	s_delay_alu instid0(VALU_DEP_1)
	v_cmp_ge_i32_e32 vcc_lo, v8, v6
	s_or_not1_b32 s15, vcc_lo, exec_lo
.LBB16_33:                              ;   in Loop: Header=BB16_34 Depth=1
	s_or_b32 exec_lo, exec_lo, s14
	s_delay_alu instid0(SALU_CYCLE_1) | instskip(NEXT) | instid1(SALU_CYCLE_1)
	s_and_b32 s14, exec_lo, s15
	s_or_b32 s3, s14, s3
	s_delay_alu instid0(SALU_CYCLE_1)
	s_and_not1_b32 exec_lo, exec_lo, s3
	s_cbranch_execz .LBB16_60
.LBB16_34:                              ; =>This Loop Header: Depth=1
                                        ;     Child Loop BB16_35 Depth 2
                                        ;     Child Loop BB16_40 Depth 2
                                        ;       Child Loop BB16_49 Depth 3
	s_clause 0x1
	global_load_b32 v9, v8, s[6:7] scale_offset
	global_load_b64 v[10:11], v8, s[8:9] scale_offset
	s_mov_b32 s14, 0
	s_wait_loadcnt 0x1
	v_subrev_nc_u32_e32 v12, s28, v9
	v_ashrrev_i32_e32 v9, 31, v8
	s_clause 0x1
	global_load_b32 v20, v12, s[4:5] offset:4 scale_offset
	global_load_b32 v19, v12, s[10:11] scale_offset
	v_ashrrev_i32_e32 v13, 31, v12
	v_lshl_add_u64 v[14:15], v[8:9], 3, s[8:9]
	s_wait_xcnt 0x0
	s_delay_alu instid0(VALU_DEP_2)
	v_lshl_add_u64 v[12:13], v[12:13], 2, s[12:13]
.LBB16_35:                              ;   Parent Loop BB16_34 Depth=1
                                        ; =>  This Inner Loop Header: Depth=2
	global_load_b32 v9, v[12:13], off scope:SCOPE_DEV
	s_wait_loadcnt 0x0
	v_cmp_ne_u32_e32 vcc_lo, 0, v9
	s_or_b32 s14, vcc_lo, s14
	s_wait_xcnt 0x0
	s_and_not1_b32 exec_lo, exec_lo, s14
	s_cbranch_execnz .LBB16_35
; %bb.36:                               ;   in Loop: Header=BB16_34 Depth=1
	s_or_b32 exec_lo, exec_lo, s14
	v_subrev_nc_u32_e32 v9, s28, v20
	v_cmp_eq_u32_e32 vcc_lo, -1, v19
	global_inv scope:SCOPE_DEV
	s_mov_b32 s15, -1
	s_mov_b32 s14, exec_lo
	v_add_nc_u32_e32 v12, -1, v9
	s_delay_alu instid0(VALU_DEP_1)
	v_cndmask_b32_e32 v19, v19, v12, vcc_lo
	global_load_b64 v[12:13], v19, s[8:9] scale_offset
	s_wait_loadcnt 0x0
	s_wait_xcnt 0x0
	v_cmpx_neq_f64_e32 0, v[12:13]
	s_cbranch_execz .LBB16_33
; %bb.37:                               ;   in Loop: Header=BB16_34 Depth=1
	v_div_scale_f64 v[20:21], null, v[12:13], v[12:13], v[10:11]
	s_mov_b32 s15, exec_lo
	v_rcp_f64_e32 v[22:23], v[20:21]
	v_nop
	s_delay_alu instid0(TRANS32_DEP_1) | instskip(NEXT) | instid1(VALU_DEP_1)
	v_fma_f64 v[24:25], -v[20:21], v[22:23], 1.0
	v_fmac_f64_e32 v[22:23], v[22:23], v[24:25]
	s_delay_alu instid0(VALU_DEP_1) | instskip(NEXT) | instid1(VALU_DEP_1)
	v_fma_f64 v[24:25], -v[20:21], v[22:23], 1.0
	v_fmac_f64_e32 v[22:23], v[22:23], v[24:25]
	v_div_scale_f64 v[24:25], vcc_lo, v[10:11], v[12:13], v[10:11]
	s_delay_alu instid0(VALU_DEP_1) | instskip(NEXT) | instid1(VALU_DEP_1)
	v_mul_f64_e32 v[26:27], v[24:25], v[22:23]
	v_fma_f64 v[20:21], -v[20:21], v[26:27], v[24:25]
	s_delay_alu instid0(VALU_DEP_1) | instskip(NEXT) | instid1(VALU_DEP_1)
	v_div_fmas_f64 v[20:21], v[20:21], v[22:23], v[26:27]
	v_div_fixup_f64 v[10:11], v[20:21], v[12:13], v[10:11]
	v_add_nc_u32_e32 v12, v18, v19
	global_store_b64 v[14:15], v[10:11], off
	s_wait_xcnt 0x0
	v_cmpx_lt_i32_e64 v12, v9
	s_cbranch_execz .LBB16_32
; %bb.38:                               ;   in Loop: Header=BB16_34 Depth=1
	s_mov_b32 s22, 0
	s_branch .LBB16_40
.LBB16_39:                              ;   in Loop: Header=BB16_40 Depth=2
	s_wait_xcnt 0x0
	s_or_b32 exec_lo, exec_lo, s23
	v_add_nc_u32_e32 v12, 32, v12
	s_delay_alu instid0(VALU_DEP_1) | instskip(SKIP_1) | instid1(SALU_CYCLE_1)
	v_cmp_ge_i32_e32 vcc_lo, v12, v9
	s_or_b32 s22, vcc_lo, s22
	s_and_not1_b32 exec_lo, exec_lo, s22
	s_cbranch_execz .LBB16_32
.LBB16_40:                              ;   Parent Loop BB16_34 Depth=1
                                        ; =>  This Loop Header: Depth=2
                                        ;       Child Loop BB16_49 Depth 3
	global_load_b32 v14, v12, s[6:7] scale_offset
	v_ashrrev_i32_e32 v13, 31, v12
	v_mov_b32_e32 v15, 0x80
	s_mov_b32 s23, 0
                                        ; implicit-def: $sgpr24
                                        ; implicit-def: $sgpr25
                                        ; implicit-def: $sgpr26
	s_wait_loadcnt 0x0
	v_mul_lo_u32 v20, 0x67, v14
	s_branch .LBB16_49
.LBB16_41:                              ;   in Loop: Header=BB16_49 Depth=3
	s_or_b32 exec_lo, exec_lo, s40
	s_delay_alu instid0(SALU_CYCLE_1)
	s_or_not1_b32 s38, s38, exec_lo
	s_or_not1_b32 s39, s39, exec_lo
.LBB16_42:                              ;   in Loop: Header=BB16_49 Depth=3
	s_or_b32 exec_lo, exec_lo, s37
	s_delay_alu instid0(SALU_CYCLE_1)
	s_and_b32 s38, s38, exec_lo
	s_or_not1_b32 s37, s39, exec_lo
.LBB16_43:                              ;   in Loop: Header=BB16_49 Depth=3
	s_or_b32 exec_lo, exec_lo, s36
	s_delay_alu instid0(SALU_CYCLE_1)
	s_or_not1_b32 s36, s38, exec_lo
	s_or_not1_b32 s37, s37, exec_lo
.LBB16_44:                              ;   in Loop: Header=BB16_49 Depth=3
	s_or_b32 exec_lo, exec_lo, s35
	s_delay_alu instid0(SALU_CYCLE_1)
	s_and_b32 s36, s36, exec_lo
	s_or_not1_b32 s35, s37, exec_lo
.LBB16_45:                              ;   in Loop: Header=BB16_49 Depth=3
	s_or_b32 exec_lo, exec_lo, s34
	s_delay_alu instid0(SALU_CYCLE_1)
	s_or_not1_b32 s34, s36, exec_lo
	s_or_not1_b32 s35, s35, exec_lo
.LBB16_46:                              ;   in Loop: Header=BB16_49 Depth=3
	s_or_b32 exec_lo, exec_lo, s33
	s_delay_alu instid0(SALU_CYCLE_1)
	s_and_b32 s34, s34, exec_lo
	s_or_not1_b32 s33, s35, exec_lo
.LBB16_47:                              ;   in Loop: Header=BB16_49 Depth=3
	s_or_b32 exec_lo, exec_lo, s31
	s_delay_alu instid0(SALU_CYCLE_1)
	s_and_not1_b32 s26, s26, exec_lo
	s_and_b32 s31, s34, exec_lo
	s_and_not1_b32 s25, s25, exec_lo
	s_and_b32 s33, s33, exec_lo
	s_or_b32 s26, s26, s31
	s_or_b32 s25, s25, s33
.LBB16_48:                              ;   in Loop: Header=BB16_49 Depth=3
	s_or_b32 exec_lo, exec_lo, s27
	s_delay_alu instid0(SALU_CYCLE_1) | instskip(NEXT) | instid1(SALU_CYCLE_1)
	s_and_b32 s27, exec_lo, s25
	s_or_b32 s23, s27, s23
	s_and_not1_b32 s24, s24, exec_lo
	s_and_b32 s27, s26, exec_lo
	s_delay_alu instid0(SALU_CYCLE_1)
	s_or_b32 s24, s24, s27
	s_and_not1_b32 exec_lo, exec_lo, s23
	s_cbranch_execz .LBB16_58
.LBB16_49:                              ;   Parent Loop BB16_34 Depth=1
                                        ;     Parent Loop BB16_40 Depth=2
                                        ; =>    This Inner Loop Header: Depth=3
	s_delay_alu instid0(VALU_DEP_1) | instskip(SKIP_3) | instid1(VALU_DEP_1)
	v_and_b32_e32 v19, 0x7f, v20
	s_or_b32 s26, s26, exec_lo
	s_or_b32 s25, s25, exec_lo
	s_mov_b32 s27, exec_lo
	v_lshl_add_u32 v21, v19, 2, v7
	ds_load_b32 v21, v21
	s_wait_dscnt 0x0
	s_wait_xcnt 0x0
	v_cmpx_ne_u32_e32 -1, v21
	s_cbranch_execz .LBB16_48
; %bb.50:                               ;   in Loop: Header=BB16_49 Depth=3
	s_mov_b32 s33, -1
	s_mov_b32 s34, 0
	s_mov_b32 s31, exec_lo
	v_cmpx_ne_u32_e64 v21, v14
	s_cbranch_execz .LBB16_47
; %bb.51:                               ;   in Loop: Header=BB16_49 Depth=3
	v_add_nc_u32_e32 v19, 1, v20
	s_mov_b32 s35, -1
	s_mov_b32 s34, -1
	s_mov_b32 s33, exec_lo
	s_delay_alu instid0(VALU_DEP_1) | instskip(NEXT) | instid1(VALU_DEP_1)
	v_and_b32_e32 v19, 0x7f, v19
	v_lshl_add_u32 v21, v19, 2, v7
	ds_load_b32 v21, v21
	s_wait_dscnt 0x0
	v_cmpx_ne_u32_e32 -1, v21
	s_cbranch_execz .LBB16_46
; %bb.52:                               ;   in Loop: Header=BB16_49 Depth=3
	s_mov_b32 s36, 0
	s_mov_b32 s34, exec_lo
	v_cmpx_ne_u32_e64 v21, v14
	s_cbranch_execz .LBB16_45
; %bb.53:                               ;   in Loop: Header=BB16_49 Depth=3
	v_add_nc_u32_e32 v19, 2, v20
	s_mov_b32 s37, -1
	s_mov_b32 s36, -1
	s_mov_b32 s35, exec_lo
	s_delay_alu instid0(VALU_DEP_1) | instskip(NEXT) | instid1(VALU_DEP_1)
	v_and_b32_e32 v19, 0x7f, v19
	v_lshl_add_u32 v21, v19, 2, v7
	ds_load_b32 v21, v21
	s_wait_dscnt 0x0
	v_cmpx_ne_u32_e32 -1, v21
	s_cbranch_execz .LBB16_44
; %bb.54:                               ;   in Loop: Header=BB16_49 Depth=3
	s_mov_b32 s38, 0
	s_mov_b32 s36, exec_lo
	v_cmpx_ne_u32_e64 v21, v14
	s_cbranch_execz .LBB16_43
; %bb.55:                               ;   in Loop: Header=BB16_49 Depth=3
	v_add_nc_u32_e32 v19, 3, v20
	s_mov_b32 s39, -1
	s_mov_b32 s38, -1
	s_mov_b32 s37, exec_lo
	s_delay_alu instid0(VALU_DEP_1) | instskip(NEXT) | instid1(VALU_DEP_1)
	v_and_b32_e32 v19, 0x7f, v19
	v_lshl_add_u32 v20, v19, 2, v7
	ds_load_b32 v21, v20
                                        ; implicit-def: $vgpr20
	s_wait_dscnt 0x0
	v_cmpx_ne_u32_e32 -1, v21
	s_cbranch_execz .LBB16_42
; %bb.56:                               ;   in Loop: Header=BB16_49 Depth=3
	s_mov_b32 s38, 0
	s_mov_b32 s40, exec_lo
                                        ; implicit-def: $vgpr20
	v_cmpx_ne_u32_e64 v21, v14
	s_cbranch_execz .LBB16_41
; %bb.57:                               ;   in Loop: Header=BB16_49 Depth=3
	v_add_nc_u32_e32 v15, -4, v15
	v_add_nc_u32_e32 v20, 1, v19
	s_mov_b32 s38, exec_lo
	s_delay_alu instid0(VALU_DEP_2)
	v_cmp_eq_u32_e32 vcc_lo, 0, v15
	s_or_not1_b32 s39, vcc_lo, exec_lo
	s_branch .LBB16_41
.LBB16_58:                              ;   in Loop: Header=BB16_40 Depth=2
	s_or_b32 exec_lo, exec_lo, s23
	s_xor_b32 s23, s24, -1
	s_delay_alu instid0(SALU_CYCLE_1) | instskip(NEXT) | instid1(SALU_CYCLE_1)
	s_and_saveexec_b32 s24, s23
	s_xor_b32 s23, exec_lo, s24
	s_cbranch_execz .LBB16_39
; %bb.59:                               ;   in Loop: Header=BB16_40 Depth=2
	v_lshl_add_u32 v14, v19, 2, v17
	ds_load_b32 v19, v14
	v_lshl_add_u64 v[14:15], v[12:13], 3, s[8:9]
	global_load_b64 v[20:21], v[14:15], off
	s_wait_dscnt 0x0
	global_load_b64 v[22:23], v19, s[8:9] scale_offset
	s_wait_loadcnt 0x0
	s_wait_xcnt 0x1
	v_fma_f64 v[14:15], -v[10:11], v[20:21], v[22:23]
	global_store_b64 v19, v[14:15], s[8:9] scale_offset
	s_branch .LBB16_39
.LBB16_60:
	s_or_b32 exec_lo, exec_lo, s2
	s_mov_b32 s4, -1
	s_mov_b32 s3, exec_lo
	s_wait_storecnt 0x0
	v_cmpx_lt_i32_e32 -1, v6
	s_cbranch_execz .LBB16_76
; %bb.61:
	global_load_b64 v[8:9], v6, s[8:9] scale_offset
	v_cmp_eq_u32_e64 s2, 0, v16
	s_wait_loadcnt 0x0
	v_cmp_gt_f64_e32 vcc_lo, 0, v[8:9]
	v_xor_b32_e32 v7, 0x80000000, v9
	s_delay_alu instid0(VALU_DEP_1)
	v_dual_mov_b32 v10, v8 :: v_dual_cndmask_b32 v11, v9, v7
	s_and_not1_b32 vcc_lo, exec_lo, s29
	s_cbranch_vccnz .LBB16_65
; %bb.62:
	v_cvt_f64_f32_e32 v[12:13], s30
	s_cmp_eq_u64 s[20:21], 8
	s_cselect_b32 vcc_lo, -1, 0
	s_delay_alu instid0(VALU_DEP_1) | instskip(NEXT) | instid1(VALU_DEP_1)
	v_dual_cndmask_b32 v3, v13, v3 :: v_dual_cndmask_b32 v2, v12, v2
	v_cmp_le_f64_e32 vcc_lo, v[10:11], v[2:3]
	s_and_b32 s5, s2, vcc_lo
	s_delay_alu instid0(SALU_CYCLE_1)
	s_and_saveexec_b32 s4, s5
	s_cbranch_execz .LBB16_64
; %bb.63:
	v_mov_b32_e32 v7, 0
	s_delay_alu instid0(VALU_DEP_1)
	v_lshl_add_u64 v[2:3], v[6:7], 3, s[8:9]
	global_store_b64 v[2:3], v[4:5], off
	global_wb scope:SCOPE_DEV
	s_wait_storecnt 0x0
	global_inv scope:SCOPE_DEV
.LBB16_64:
	s_wait_xcnt 0x0
	s_or_b32 exec_lo, exec_lo, s4
	s_mov_b32 s4, 0
.LBB16_65:
	s_delay_alu instid0(SALU_CYCLE_1)
	s_and_not1_b32 vcc_lo, exec_lo, s4
	s_cbranch_vccnz .LBB16_76
; %bb.66:
	s_load_b64 s[0:1], s[0:1], 0x48
	v_add_nc_u32_e32 v2, s28, v0
	s_wait_kmcnt 0x0
	v_cmp_ge_f64_e32 vcc_lo, s[0:1], v[10:11]
	s_and_b32 s1, s2, vcc_lo
	s_delay_alu instid0(SALU_CYCLE_1)
	s_and_saveexec_b32 s0, s1
	s_cbranch_execz .LBB16_71
; %bb.67:
	s_mov_b32 s4, exec_lo
	s_brev_b32 s1, -2
.LBB16_68:                              ; =>This Inner Loop Header: Depth=1
	s_ctz_i32_b32 s5, s4
	s_delay_alu instid0(SALU_CYCLE_1) | instskip(SKIP_1) | instid1(SALU_CYCLE_1)
	v_readlane_b32 s6, v2, s5
	s_lshl_b32 s5, 1, s5
	s_and_not1_b32 s4, s4, s5
	s_min_i32 s1, s1, s6
	s_cmp_lg_u32 s4, 0
	s_cbranch_scc1 .LBB16_68
; %bb.69:
	v_mbcnt_lo_u32_b32 v3, exec_lo, 0
	s_mov_b32 s4, exec_lo
	s_delay_alu instid0(VALU_DEP_1)
	v_cmpx_eq_u32_e32 0, v3
	s_xor_b32 s4, exec_lo, s4
	s_cbranch_execz .LBB16_71
; %bb.70:
	v_dual_mov_b32 v3, 0 :: v_dual_mov_b32 v4, s1
	global_atomic_min_i32 v3, v4, s[18:19] scope:SCOPE_DEV
.LBB16_71:
	s_wait_xcnt 0x0
	s_or_b32 exec_lo, exec_lo, s0
	v_cmp_eq_f64_e32 vcc_lo, 0, v[8:9]
	s_and_b32 s0, s2, vcc_lo
	s_delay_alu instid0(SALU_CYCLE_1)
	s_and_b32 exec_lo, exec_lo, s0
	s_cbranch_execz .LBB16_76
; %bb.72:
	s_mov_b32 s1, exec_lo
	s_brev_b32 s0, -2
.LBB16_73:                              ; =>This Inner Loop Header: Depth=1
	s_ctz_i32_b32 s2, s1
	s_delay_alu instid0(SALU_CYCLE_1) | instskip(SKIP_1) | instid1(SALU_CYCLE_1)
	v_readlane_b32 s4, v2, s2
	s_lshl_b32 s2, 1, s2
	s_and_not1_b32 s1, s1, s2
	s_min_i32 s0, s0, s4
	s_cmp_lg_u32 s1, 0
	s_cbranch_scc1 .LBB16_73
; %bb.74:
	v_mbcnt_lo_u32_b32 v2, exec_lo, 0
	s_mov_b32 s1, exec_lo
	s_delay_alu instid0(VALU_DEP_1)
	v_cmpx_eq_u32_e32 0, v2
	s_xor_b32 s1, exec_lo, s1
	s_cbranch_execz .LBB16_76
; %bb.75:
	v_dual_mov_b32 v2, 0 :: v_dual_mov_b32 v3, s0
	global_atomic_min_i32 v2, v3, s[16:17] scope:SCOPE_DEV
.LBB16_76:
	s_wait_xcnt 0x0
	s_or_b32 exec_lo, exec_lo, s3
	v_cmp_eq_u32_e32 vcc_lo, 0, v16
	global_wb scope:SCOPE_DEV
	s_wait_loadcnt 0x0
	s_wait_storecnt 0x0
	global_inv scope:SCOPE_DEV
	s_and_b32 exec_lo, exec_lo, vcc_lo
	s_cbranch_execz .LBB16_78
; %bb.77:
	v_lshl_add_u64 v[0:1], v[0:1], 2, s[12:13]
	v_mov_b32_e32 v2, 1
	global_wb scope:SCOPE_DEV
	s_wait_loadcnt 0x0
	s_wait_storecnt 0x0
	global_store_b32 v[0:1], v2, off scope:SCOPE_DEV
.LBB16_78:
	s_endpgm
	.section	.rodata,"a",@progbits
	.p2align	6, 0x0
	.amdhsa_kernel _ZN9rocsparseL12csrilu0_hashILj256ELj32ELj4EdEEviPKiS2_PT2_S2_PiS2_S5_S5_d21rocsparse_index_base_imNS_24const_host_device_scalarIfEENS7_IdEENS7_IS3_EEb
		.amdhsa_group_segment_fixed_size 8192
		.amdhsa_private_segment_fixed_size 0
		.amdhsa_kernarg_size 124
		.amdhsa_user_sgpr_count 2
		.amdhsa_user_sgpr_dispatch_ptr 0
		.amdhsa_user_sgpr_queue_ptr 0
		.amdhsa_user_sgpr_kernarg_segment_ptr 1
		.amdhsa_user_sgpr_dispatch_id 0
		.amdhsa_user_sgpr_kernarg_preload_length 0
		.amdhsa_user_sgpr_kernarg_preload_offset 0
		.amdhsa_user_sgpr_private_segment_size 0
		.amdhsa_wavefront_size32 1
		.amdhsa_uses_dynamic_stack 0
		.amdhsa_enable_private_segment 0
		.amdhsa_system_sgpr_workgroup_id_x 1
		.amdhsa_system_sgpr_workgroup_id_y 0
		.amdhsa_system_sgpr_workgroup_id_z 0
		.amdhsa_system_sgpr_workgroup_info 0
		.amdhsa_system_vgpr_workitem_id 0
		.amdhsa_next_free_vgpr 28
		.amdhsa_next_free_sgpr 41
		.amdhsa_named_barrier_count 0
		.amdhsa_reserve_vcc 1
		.amdhsa_float_round_mode_32 0
		.amdhsa_float_round_mode_16_64 0
		.amdhsa_float_denorm_mode_32 3
		.amdhsa_float_denorm_mode_16_64 3
		.amdhsa_fp16_overflow 0
		.amdhsa_memory_ordered 1
		.amdhsa_forward_progress 1
		.amdhsa_inst_pref_size 22
		.amdhsa_round_robin_scheduling 0
		.amdhsa_exception_fp_ieee_invalid_op 0
		.amdhsa_exception_fp_denorm_src 0
		.amdhsa_exception_fp_ieee_div_zero 0
		.amdhsa_exception_fp_ieee_overflow 0
		.amdhsa_exception_fp_ieee_underflow 0
		.amdhsa_exception_fp_ieee_inexact 0
		.amdhsa_exception_int_div_zero 0
	.end_amdhsa_kernel
	.section	.text._ZN9rocsparseL12csrilu0_hashILj256ELj32ELj4EdEEviPKiS2_PT2_S2_PiS2_S5_S5_d21rocsparse_index_base_imNS_24const_host_device_scalarIfEENS7_IdEENS7_IS3_EEb,"axG",@progbits,_ZN9rocsparseL12csrilu0_hashILj256ELj32ELj4EdEEviPKiS2_PT2_S2_PiS2_S5_S5_d21rocsparse_index_base_imNS_24const_host_device_scalarIfEENS7_IdEENS7_IS3_EEb,comdat
.Lfunc_end16:
	.size	_ZN9rocsparseL12csrilu0_hashILj256ELj32ELj4EdEEviPKiS2_PT2_S2_PiS2_S5_S5_d21rocsparse_index_base_imNS_24const_host_device_scalarIfEENS7_IdEENS7_IS3_EEb, .Lfunc_end16-_ZN9rocsparseL12csrilu0_hashILj256ELj32ELj4EdEEviPKiS2_PT2_S2_PiS2_S5_S5_d21rocsparse_index_base_imNS_24const_host_device_scalarIfEENS7_IdEENS7_IS3_EEb
                                        ; -- End function
	.set _ZN9rocsparseL12csrilu0_hashILj256ELj32ELj4EdEEviPKiS2_PT2_S2_PiS2_S5_S5_d21rocsparse_index_base_imNS_24const_host_device_scalarIfEENS7_IdEENS7_IS3_EEb.num_vgpr, 28
	.set _ZN9rocsparseL12csrilu0_hashILj256ELj32ELj4EdEEviPKiS2_PT2_S2_PiS2_S5_S5_d21rocsparse_index_base_imNS_24const_host_device_scalarIfEENS7_IdEENS7_IS3_EEb.num_agpr, 0
	.set _ZN9rocsparseL12csrilu0_hashILj256ELj32ELj4EdEEviPKiS2_PT2_S2_PiS2_S5_S5_d21rocsparse_index_base_imNS_24const_host_device_scalarIfEENS7_IdEENS7_IS3_EEb.numbered_sgpr, 41
	.set _ZN9rocsparseL12csrilu0_hashILj256ELj32ELj4EdEEviPKiS2_PT2_S2_PiS2_S5_S5_d21rocsparse_index_base_imNS_24const_host_device_scalarIfEENS7_IdEENS7_IS3_EEb.num_named_barrier, 0
	.set _ZN9rocsparseL12csrilu0_hashILj256ELj32ELj4EdEEviPKiS2_PT2_S2_PiS2_S5_S5_d21rocsparse_index_base_imNS_24const_host_device_scalarIfEENS7_IdEENS7_IS3_EEb.private_seg_size, 0
	.set _ZN9rocsparseL12csrilu0_hashILj256ELj32ELj4EdEEviPKiS2_PT2_S2_PiS2_S5_S5_d21rocsparse_index_base_imNS_24const_host_device_scalarIfEENS7_IdEENS7_IS3_EEb.uses_vcc, 1
	.set _ZN9rocsparseL12csrilu0_hashILj256ELj32ELj4EdEEviPKiS2_PT2_S2_PiS2_S5_S5_d21rocsparse_index_base_imNS_24const_host_device_scalarIfEENS7_IdEENS7_IS3_EEb.uses_flat_scratch, 0
	.set _ZN9rocsparseL12csrilu0_hashILj256ELj32ELj4EdEEviPKiS2_PT2_S2_PiS2_S5_S5_d21rocsparse_index_base_imNS_24const_host_device_scalarIfEENS7_IdEENS7_IS3_EEb.has_dyn_sized_stack, 0
	.set _ZN9rocsparseL12csrilu0_hashILj256ELj32ELj4EdEEviPKiS2_PT2_S2_PiS2_S5_S5_d21rocsparse_index_base_imNS_24const_host_device_scalarIfEENS7_IdEENS7_IS3_EEb.has_recursion, 0
	.set _ZN9rocsparseL12csrilu0_hashILj256ELj32ELj4EdEEviPKiS2_PT2_S2_PiS2_S5_S5_d21rocsparse_index_base_imNS_24const_host_device_scalarIfEENS7_IdEENS7_IS3_EEb.has_indirect_call, 0
	.section	.AMDGPU.csdata,"",@progbits
; Kernel info:
; codeLenInByte = 2816
; TotalNumSgprs: 43
; NumVgprs: 28
; ScratchSize: 0
; MemoryBound: 0
; FloatMode: 240
; IeeeMode: 1
; LDSByteSize: 8192 bytes/workgroup (compile time only)
; SGPRBlocks: 0
; VGPRBlocks: 1
; NumSGPRsForWavesPerEU: 43
; NumVGPRsForWavesPerEU: 28
; NamedBarCnt: 0
; Occupancy: 16
; WaveLimiterHint : 1
; COMPUTE_PGM_RSRC2:SCRATCH_EN: 0
; COMPUTE_PGM_RSRC2:USER_SGPR: 2
; COMPUTE_PGM_RSRC2:TRAP_HANDLER: 0
; COMPUTE_PGM_RSRC2:TGID_X_EN: 1
; COMPUTE_PGM_RSRC2:TGID_Y_EN: 0
; COMPUTE_PGM_RSRC2:TGID_Z_EN: 0
; COMPUTE_PGM_RSRC2:TIDIG_COMP_CNT: 0
	.section	.text._ZN9rocsparseL12csrilu0_hashILj256ELj32ELj8EdEEviPKiS2_PT2_S2_PiS2_S5_S5_d21rocsparse_index_base_imNS_24const_host_device_scalarIfEENS7_IdEENS7_IS3_EEb,"axG",@progbits,_ZN9rocsparseL12csrilu0_hashILj256ELj32ELj8EdEEviPKiS2_PT2_S2_PiS2_S5_S5_d21rocsparse_index_base_imNS_24const_host_device_scalarIfEENS7_IdEENS7_IS3_EEb,comdat
	.globl	_ZN9rocsparseL12csrilu0_hashILj256ELj32ELj8EdEEviPKiS2_PT2_S2_PiS2_S5_S5_d21rocsparse_index_base_imNS_24const_host_device_scalarIfEENS7_IdEENS7_IS3_EEb ; -- Begin function _ZN9rocsparseL12csrilu0_hashILj256ELj32ELj8EdEEviPKiS2_PT2_S2_PiS2_S5_S5_d21rocsparse_index_base_imNS_24const_host_device_scalarIfEENS7_IdEENS7_IS3_EEb
	.p2align	8
	.type	_ZN9rocsparseL12csrilu0_hashILj256ELj32ELj8EdEEviPKiS2_PT2_S2_PiS2_S5_S5_d21rocsparse_index_base_imNS_24const_host_device_scalarIfEENS7_IdEENS7_IS3_EEb,@function
_ZN9rocsparseL12csrilu0_hashILj256ELj32ELj8EdEEviPKiS2_PT2_S2_PiS2_S5_S5_d21rocsparse_index_base_imNS_24const_host_device_scalarIfEENS7_IdEENS7_IS3_EEb: ; @_ZN9rocsparseL12csrilu0_hashILj256ELj32ELj8EdEEviPKiS2_PT2_S2_PiS2_S5_S5_d21rocsparse_index_base_imNS_24const_host_device_scalarIfEENS7_IdEENS7_IS3_EEb
; %bb.0:
	s_clause 0x2
	s_load_b32 s2, s[0:1], 0x78
	s_load_b64 s[28:29], s[0:1], 0x50
	s_load_b256 s[20:27], s[0:1], 0x58
	s_wait_kmcnt 0x0
	s_bitcmp1_b32 s2, 0
	s_cselect_b32 s2, -1, 0
	s_cmp_eq_u32 s29, 0
	s_cselect_b32 s4, -1, 0
	s_cmp_lg_u32 s29, 0
	s_cselect_b32 s29, -1, 0
	s_or_b32 s6, s4, s2
	s_delay_alu instid0(SALU_CYCLE_1)
	s_xor_b32 s5, s6, -1
	s_and_b32 s2, s4, exec_lo
	s_cselect_b32 s3, 0, s25
	s_cselect_b32 s2, 0, s24
	;; [unrolled: 1-line block ×3, first 2 shown]
	s_and_b32 vcc_lo, exec_lo, s6
	s_cbranch_vccnz .LBB17_2
; %bb.1:
	s_load_b32 s30, s[22:23], 0x0
	s_mov_b64 s[2:3], s[24:25]
.LBB17_2:
	s_delay_alu instid0(SALU_CYCLE_1)
	v_mov_b64_e32 v[2:3], s[2:3]
	v_cndmask_b32_e64 v1, 0, 1, s5
	s_and_not1_b32 vcc_lo, exec_lo, s5
	s_cbranch_vccnz .LBB17_4
; %bb.3:
	v_mov_b32_e32 v2, 0
	flat_load_b64 v[2:3], v2, s[24:25]
.LBB17_4:
	s_and_b32 s2, s4, exec_lo
	s_cselect_b32 s3, 0, s27
	s_cselect_b32 s2, 0, s26
	v_cmp_ne_u32_e32 vcc_lo, 1, v1
	v_mov_b64_e32 v[4:5], s[2:3]
	s_cbranch_vccnz .LBB17_6
; %bb.5:
	v_mov_b32_e32 v1, 0
	flat_load_b64 v[4:5], v1, s[26:27]
.LBB17_6:
	s_load_b32 s2, s[0:1], 0x0
	s_bfe_u32 s3, ttmp6, 0x4000c
	v_dual_lshlrev_b32 v1, 3, v0 :: v_dual_bitop2_b32 v16, 31, v0 bitop3:0x40
	s_add_co_i32 s3, s3, 1
	s_and_b32 s4, ttmp6, 15
	s_mul_i32 s3, ttmp9, s3
	s_getreg_b32 s5, hwreg(HW_REG_IB_STS2, 6, 4)
	s_add_co_i32 s4, s4, s3
	s_cmp_eq_u32 s5, 0
	v_and_b32_e32 v11, 0x700, v1
	v_dual_lshrrev_b32 v0, 5, v0 :: v_dual_mov_b32 v6, -1
	s_cselect_b32 s3, ttmp9, s4
	s_delay_alu instid0(SALU_CYCLE_1) | instskip(NEXT) | instid1(VALU_DEP_2)
	s_lshl_b32 s3, s3, 3
	v_lshl_or_b32 v7, v11, 2, 0x2000
	s_delay_alu instid0(VALU_DEP_2) | instskip(NEXT) | instid1(VALU_DEP_2)
	v_and_or_b32 v0, 0x7fffff8, s3, v0
	v_lshl_or_b32 v1, v16, 2, v7
	s_wait_kmcnt 0x0
	s_delay_alu instid0(VALU_DEP_2)
	v_cmp_gt_i32_e32 vcc_lo, s2, v0
	ds_store_2addr_b32 v1, v6, v6 offset1:32
	ds_store_2addr_b32 v1, v6, v6 offset0:64 offset1:96
	ds_store_2addr_b32 v1, v6, v6 offset0:128 offset1:160
	ds_store_2addr_b32 v1, v6, v6 offset0:192 offset1:224
	s_wait_loadcnt_dscnt 0x0
	s_and_saveexec_b32 s2, vcc_lo
	s_cbranch_execz .LBB17_78
; %bb.7:
	s_load_b512 s[4:19], s[0:1], 0x8
	s_mov_b32 s2, exec_lo
	v_lshlrev_b32_e32 v17, 2, v11
	s_wait_kmcnt 0x0
	global_load_b32 v0, v0, s[14:15] scale_offset
	s_wait_loadcnt 0x0
	v_ashrrev_i32_e32 v1, 31, v0
	s_delay_alu instid0(VALU_DEP_1)
	v_lshl_add_u64 v[8:9], v[0:1], 2, s[4:5]
	global_load_b64 v[12:13], v[8:9], off
	global_load_b32 v6, v0, s[10:11] scale_offset
	s_wait_loadcnt 0x1
	s_wait_xcnt 0x1
	v_subrev_nc_u32_e32 v8, s28, v12
	v_subrev_nc_u32_e32 v9, s28, v13
	s_delay_alu instid0(VALU_DEP_2) | instskip(SKIP_1) | instid1(VALU_DEP_1)
	v_add_nc_u32_e32 v10, v8, v16
	s_wait_xcnt 0x0
	v_cmpx_lt_i32_e64 v10, v9
	s_cbranch_execz .LBB17_30
; %bb.8:
	v_mov_b32_e32 v11, -1
	s_mov_b32 s3, 0
	s_branch .LBB17_10
.LBB17_9:                               ;   in Loop: Header=BB17_10 Depth=1
	s_or_b32 exec_lo, exec_lo, s14
	v_add_nc_u32_e32 v10, 32, v10
	s_delay_alu instid0(VALU_DEP_1) | instskip(SKIP_1) | instid1(SALU_CYCLE_1)
	v_cmp_ge_i32_e32 vcc_lo, v10, v9
	s_or_b32 s3, vcc_lo, s3
	s_and_not1_b32 exec_lo, exec_lo, s3
	s_cbranch_execz .LBB17_30
.LBB17_10:                              ; =>This Loop Header: Depth=1
                                        ;     Child Loop BB17_19 Depth 2
	global_load_b32 v12, v10, s[6:7] scale_offset
	v_mov_b32_e32 v13, 0x100
	s_mov_b32 s14, 0
                                        ; implicit-def: $sgpr15
                                        ; implicit-def: $sgpr22
                                        ; implicit-def: $sgpr23
	s_wait_loadcnt 0x0
	v_mul_lo_u32 v15, 0x67, v12
	s_branch .LBB17_19
.LBB17_11:                              ;   in Loop: Header=BB17_19 Depth=2
	s_or_b32 exec_lo, exec_lo, s37
	s_delay_alu instid0(SALU_CYCLE_1)
	s_or_not1_b32 s35, s35, exec_lo
	s_or_not1_b32 s36, s36, exec_lo
.LBB17_12:                              ;   in Loop: Header=BB17_19 Depth=2
	s_or_b32 exec_lo, exec_lo, s34
	s_delay_alu instid0(SALU_CYCLE_1)
	s_and_b32 s35, s35, exec_lo
	s_or_not1_b32 s34, s36, exec_lo
.LBB17_13:                              ;   in Loop: Header=BB17_19 Depth=2
	s_or_b32 exec_lo, exec_lo, s33
	s_delay_alu instid0(SALU_CYCLE_1)
	s_or_not1_b32 s33, s35, exec_lo
	s_or_not1_b32 s34, s34, exec_lo
.LBB17_14:                              ;   in Loop: Header=BB17_19 Depth=2
	s_or_b32 exec_lo, exec_lo, s31
	s_delay_alu instid0(SALU_CYCLE_1)
	s_and_b32 s33, s33, exec_lo
	s_or_not1_b32 s31, s34, exec_lo
.LBB17_15:                              ;   in Loop: Header=BB17_19 Depth=2
	s_or_b32 exec_lo, exec_lo, s27
	s_delay_alu instid0(SALU_CYCLE_1)
	s_or_not1_b32 s27, s33, exec_lo
	s_or_not1_b32 s31, s31, exec_lo
.LBB17_16:                              ;   in Loop: Header=BB17_19 Depth=2
	s_or_b32 exec_lo, exec_lo, s26
	s_delay_alu instid0(SALU_CYCLE_1)
	s_and_b32 s27, s27, exec_lo
	s_or_not1_b32 s26, s31, exec_lo
.LBB17_17:                              ;   in Loop: Header=BB17_19 Depth=2
	s_or_b32 exec_lo, exec_lo, s25
	s_delay_alu instid0(SALU_CYCLE_1)
	s_and_not1_b32 s23, s23, exec_lo
	s_and_b32 s25, s27, exec_lo
	s_and_not1_b32 s22, s22, exec_lo
	s_and_b32 s26, s26, exec_lo
	s_or_b32 s23, s23, s25
	s_or_b32 s22, s22, s26
.LBB17_18:                              ;   in Loop: Header=BB17_19 Depth=2
	s_or_b32 exec_lo, exec_lo, s24
	s_delay_alu instid0(SALU_CYCLE_1) | instskip(NEXT) | instid1(SALU_CYCLE_1)
	s_and_b32 s24, exec_lo, s22
	s_or_b32 s14, s24, s14
	s_and_not1_b32 s15, s15, exec_lo
	s_and_b32 s24, s23, exec_lo
	s_delay_alu instid0(SALU_CYCLE_1)
	s_or_b32 s15, s15, s24
	s_and_not1_b32 exec_lo, exec_lo, s14
	s_cbranch_execz .LBB17_28
.LBB17_19:                              ;   Parent Loop BB17_10 Depth=1
                                        ; =>  This Inner Loop Header: Depth=2
	s_delay_alu instid0(VALU_DEP_1) | instskip(SKIP_3) | instid1(VALU_DEP_1)
	v_and_b32_e32 v14, 0xff, v15
	s_or_b32 s23, s23, exec_lo
	s_or_b32 s22, s22, exec_lo
	s_mov_b32 s24, exec_lo
	v_lshl_add_u32 v18, v14, 2, v7
	ds_load_b32 v19, v18
	s_wait_dscnt 0x0
	s_wait_xcnt 0x0
	v_cmpx_ne_u32_e64 v19, v12
	s_cbranch_execz .LBB17_18
; %bb.20:                               ;   in Loop: Header=BB17_19 Depth=2
	ds_cmpstore_rtn_b32 v18, v18, v12, v11
	s_mov_b32 s26, -1
	s_mov_b32 s27, 0
	s_mov_b32 s25, exec_lo
	s_wait_dscnt 0x0
	v_cmpx_ne_u32_e32 -1, v18
	s_cbranch_execz .LBB17_17
; %bb.21:                               ;   in Loop: Header=BB17_19 Depth=2
	v_add_nc_u32_e32 v14, 1, v15
	s_mov_b32 s31, -1
	s_mov_b32 s27, -1
	s_mov_b32 s26, exec_lo
	s_delay_alu instid0(VALU_DEP_1) | instskip(NEXT) | instid1(VALU_DEP_1)
	v_and_b32_e32 v14, 0xff, v14
	v_lshl_add_u32 v18, v14, 2, v7
	ds_load_b32 v19, v18
	s_wait_dscnt 0x0
	v_cmpx_ne_u32_e64 v19, v12
	s_cbranch_execz .LBB17_16
; %bb.22:                               ;   in Loop: Header=BB17_19 Depth=2
	ds_cmpstore_rtn_b32 v18, v18, v12, v11
	s_mov_b32 s33, 0
	s_mov_b32 s27, exec_lo
	s_wait_dscnt 0x0
	v_cmpx_ne_u32_e32 -1, v18
	s_cbranch_execz .LBB17_15
; %bb.23:                               ;   in Loop: Header=BB17_19 Depth=2
	v_add_nc_u32_e32 v14, 2, v15
	s_mov_b32 s34, -1
	s_mov_b32 s33, -1
	s_mov_b32 s31, exec_lo
	s_delay_alu instid0(VALU_DEP_1) | instskip(NEXT) | instid1(VALU_DEP_1)
	v_and_b32_e32 v14, 0xff, v14
	v_lshl_add_u32 v18, v14, 2, v7
	ds_load_b32 v19, v18
	s_wait_dscnt 0x0
	v_cmpx_ne_u32_e64 v19, v12
	s_cbranch_execz .LBB17_14
; %bb.24:                               ;   in Loop: Header=BB17_19 Depth=2
	ds_cmpstore_rtn_b32 v18, v18, v12, v11
	s_mov_b32 s35, 0
	s_mov_b32 s33, exec_lo
	s_wait_dscnt 0x0
	v_cmpx_ne_u32_e32 -1, v18
	s_cbranch_execz .LBB17_13
; %bb.25:                               ;   in Loop: Header=BB17_19 Depth=2
	v_add_nc_u32_e32 v14, 3, v15
	s_mov_b32 s36, -1
	s_mov_b32 s35, -1
	s_delay_alu instid0(VALU_DEP_1) | instskip(NEXT) | instid1(VALU_DEP_1)
	v_and_b32_e32 v14, 0xff, v14
	v_lshl_add_u32 v18, v14, 2, v7
	ds_load_b32 v15, v18
	s_wait_dscnt 0x0
	v_cmp_ne_u32_e32 vcc_lo, v15, v12
                                        ; implicit-def: $vgpr15
	s_and_saveexec_b32 s34, vcc_lo
	s_cbranch_execz .LBB17_12
; %bb.26:                               ;   in Loop: Header=BB17_19 Depth=2
	ds_cmpstore_rtn_b32 v15, v18, v12, v11
	s_mov_b32 s35, 0
	s_wait_dscnt 0x0
	v_cmp_ne_u32_e32 vcc_lo, -1, v15
                                        ; implicit-def: $vgpr15
	s_and_saveexec_b32 s37, vcc_lo
	s_cbranch_execz .LBB17_11
; %bb.27:                               ;   in Loop: Header=BB17_19 Depth=2
	v_dual_add_nc_u32 v13, -4, v13 :: v_dual_add_nc_u32 v15, 1, v14
	s_mov_b32 s35, exec_lo
	s_delay_alu instid0(VALU_DEP_1)
	v_cmp_eq_u32_e32 vcc_lo, 0, v13
	s_or_not1_b32 s36, vcc_lo, exec_lo
	s_branch .LBB17_11
.LBB17_28:                              ;   in Loop: Header=BB17_10 Depth=1
	s_or_b32 exec_lo, exec_lo, s14
	s_xor_b32 s14, s15, -1
	s_delay_alu instid0(SALU_CYCLE_1) | instskip(NEXT) | instid1(SALU_CYCLE_1)
	s_and_saveexec_b32 s15, s14
	s_xor_b32 s14, exec_lo, s15
	s_cbranch_execz .LBB17_9
; %bb.29:                               ;   in Loop: Header=BB17_10 Depth=1
	v_lshl_add_u32 v12, v14, 2, v17
	ds_store_b32 v12, v10
	s_branch .LBB17_9
.LBB17_30:
	s_or_b32 exec_lo, exec_lo, s2
	s_delay_alu instid0(SALU_CYCLE_1)
	s_mov_b32 s2, exec_lo
	s_wait_loadcnt_dscnt 0x0
	v_cmpx_lt_i32_e64 v8, v6
	s_cbranch_execz .LBB17_60
; %bb.31:
	v_add_nc_u32_e32 v18, 1, v16
	s_mov_b32 s3, 0
	s_branch .LBB17_34
.LBB17_32:                              ;   in Loop: Header=BB17_34 Depth=1
	s_or_b32 exec_lo, exec_lo, s15
	v_add_nc_u32_e32 v8, 1, v8
	s_delay_alu instid0(VALU_DEP_1)
	v_cmp_ge_i32_e32 vcc_lo, v8, v6
	s_or_not1_b32 s15, vcc_lo, exec_lo
.LBB17_33:                              ;   in Loop: Header=BB17_34 Depth=1
	s_or_b32 exec_lo, exec_lo, s14
	s_delay_alu instid0(SALU_CYCLE_1) | instskip(NEXT) | instid1(SALU_CYCLE_1)
	s_and_b32 s14, exec_lo, s15
	s_or_b32 s3, s14, s3
	s_delay_alu instid0(SALU_CYCLE_1)
	s_and_not1_b32 exec_lo, exec_lo, s3
	s_cbranch_execz .LBB17_60
.LBB17_34:                              ; =>This Loop Header: Depth=1
                                        ;     Child Loop BB17_35 Depth 2
                                        ;     Child Loop BB17_40 Depth 2
                                        ;       Child Loop BB17_49 Depth 3
	s_clause 0x1
	global_load_b32 v9, v8, s[6:7] scale_offset
	global_load_b64 v[10:11], v8, s[8:9] scale_offset
	s_mov_b32 s14, 0
	s_wait_loadcnt 0x1
	v_subrev_nc_u32_e32 v12, s28, v9
	v_ashrrev_i32_e32 v9, 31, v8
	s_clause 0x1
	global_load_b32 v20, v12, s[4:5] offset:4 scale_offset
	global_load_b32 v19, v12, s[10:11] scale_offset
	v_ashrrev_i32_e32 v13, 31, v12
	v_lshl_add_u64 v[14:15], v[8:9], 3, s[8:9]
	s_wait_xcnt 0x0
	s_delay_alu instid0(VALU_DEP_2)
	v_lshl_add_u64 v[12:13], v[12:13], 2, s[12:13]
.LBB17_35:                              ;   Parent Loop BB17_34 Depth=1
                                        ; =>  This Inner Loop Header: Depth=2
	global_load_b32 v9, v[12:13], off scope:SCOPE_DEV
	s_wait_loadcnt 0x0
	v_cmp_ne_u32_e32 vcc_lo, 0, v9
	s_or_b32 s14, vcc_lo, s14
	s_wait_xcnt 0x0
	s_and_not1_b32 exec_lo, exec_lo, s14
	s_cbranch_execnz .LBB17_35
; %bb.36:                               ;   in Loop: Header=BB17_34 Depth=1
	s_or_b32 exec_lo, exec_lo, s14
	v_subrev_nc_u32_e32 v9, s28, v20
	v_cmp_eq_u32_e32 vcc_lo, -1, v19
	global_inv scope:SCOPE_DEV
	s_mov_b32 s15, -1
	s_mov_b32 s14, exec_lo
	v_add_nc_u32_e32 v12, -1, v9
	s_delay_alu instid0(VALU_DEP_1)
	v_cndmask_b32_e32 v19, v19, v12, vcc_lo
	global_load_b64 v[12:13], v19, s[8:9] scale_offset
	s_wait_loadcnt 0x0
	s_wait_xcnt 0x0
	v_cmpx_neq_f64_e32 0, v[12:13]
	s_cbranch_execz .LBB17_33
; %bb.37:                               ;   in Loop: Header=BB17_34 Depth=1
	v_div_scale_f64 v[20:21], null, v[12:13], v[12:13], v[10:11]
	s_mov_b32 s15, exec_lo
	v_rcp_f64_e32 v[22:23], v[20:21]
	v_nop
	s_delay_alu instid0(TRANS32_DEP_1) | instskip(NEXT) | instid1(VALU_DEP_1)
	v_fma_f64 v[24:25], -v[20:21], v[22:23], 1.0
	v_fmac_f64_e32 v[22:23], v[22:23], v[24:25]
	s_delay_alu instid0(VALU_DEP_1) | instskip(NEXT) | instid1(VALU_DEP_1)
	v_fma_f64 v[24:25], -v[20:21], v[22:23], 1.0
	v_fmac_f64_e32 v[22:23], v[22:23], v[24:25]
	v_div_scale_f64 v[24:25], vcc_lo, v[10:11], v[12:13], v[10:11]
	s_delay_alu instid0(VALU_DEP_1) | instskip(NEXT) | instid1(VALU_DEP_1)
	v_mul_f64_e32 v[26:27], v[24:25], v[22:23]
	v_fma_f64 v[20:21], -v[20:21], v[26:27], v[24:25]
	s_delay_alu instid0(VALU_DEP_1) | instskip(NEXT) | instid1(VALU_DEP_1)
	v_div_fmas_f64 v[20:21], v[20:21], v[22:23], v[26:27]
	v_div_fixup_f64 v[10:11], v[20:21], v[12:13], v[10:11]
	v_add_nc_u32_e32 v12, v18, v19
	global_store_b64 v[14:15], v[10:11], off
	s_wait_xcnt 0x0
	v_cmpx_lt_i32_e64 v12, v9
	s_cbranch_execz .LBB17_32
; %bb.38:                               ;   in Loop: Header=BB17_34 Depth=1
	s_mov_b32 s22, 0
	s_branch .LBB17_40
.LBB17_39:                              ;   in Loop: Header=BB17_40 Depth=2
	s_wait_xcnt 0x0
	s_or_b32 exec_lo, exec_lo, s23
	v_add_nc_u32_e32 v12, 32, v12
	s_delay_alu instid0(VALU_DEP_1) | instskip(SKIP_1) | instid1(SALU_CYCLE_1)
	v_cmp_ge_i32_e32 vcc_lo, v12, v9
	s_or_b32 s22, vcc_lo, s22
	s_and_not1_b32 exec_lo, exec_lo, s22
	s_cbranch_execz .LBB17_32
.LBB17_40:                              ;   Parent Loop BB17_34 Depth=1
                                        ; =>  This Loop Header: Depth=2
                                        ;       Child Loop BB17_49 Depth 3
	global_load_b32 v14, v12, s[6:7] scale_offset
	v_ashrrev_i32_e32 v13, 31, v12
	v_mov_b32_e32 v15, 0x100
	s_mov_b32 s23, 0
                                        ; implicit-def: $sgpr24
                                        ; implicit-def: $sgpr25
                                        ; implicit-def: $sgpr26
	s_wait_loadcnt 0x0
	v_mul_lo_u32 v20, 0x67, v14
	s_branch .LBB17_49
.LBB17_41:                              ;   in Loop: Header=BB17_49 Depth=3
	s_or_b32 exec_lo, exec_lo, s40
	s_delay_alu instid0(SALU_CYCLE_1)
	s_or_not1_b32 s38, s38, exec_lo
	s_or_not1_b32 s39, s39, exec_lo
.LBB17_42:                              ;   in Loop: Header=BB17_49 Depth=3
	s_or_b32 exec_lo, exec_lo, s37
	s_delay_alu instid0(SALU_CYCLE_1)
	s_and_b32 s38, s38, exec_lo
	s_or_not1_b32 s37, s39, exec_lo
.LBB17_43:                              ;   in Loop: Header=BB17_49 Depth=3
	s_or_b32 exec_lo, exec_lo, s36
	s_delay_alu instid0(SALU_CYCLE_1)
	s_or_not1_b32 s36, s38, exec_lo
	s_or_not1_b32 s37, s37, exec_lo
.LBB17_44:                              ;   in Loop: Header=BB17_49 Depth=3
	s_or_b32 exec_lo, exec_lo, s35
	s_delay_alu instid0(SALU_CYCLE_1)
	s_and_b32 s36, s36, exec_lo
	s_or_not1_b32 s35, s37, exec_lo
.LBB17_45:                              ;   in Loop: Header=BB17_49 Depth=3
	s_or_b32 exec_lo, exec_lo, s34
	s_delay_alu instid0(SALU_CYCLE_1)
	s_or_not1_b32 s34, s36, exec_lo
	s_or_not1_b32 s35, s35, exec_lo
.LBB17_46:                              ;   in Loop: Header=BB17_49 Depth=3
	s_or_b32 exec_lo, exec_lo, s33
	s_delay_alu instid0(SALU_CYCLE_1)
	s_and_b32 s34, s34, exec_lo
	s_or_not1_b32 s33, s35, exec_lo
.LBB17_47:                              ;   in Loop: Header=BB17_49 Depth=3
	s_or_b32 exec_lo, exec_lo, s31
	s_delay_alu instid0(SALU_CYCLE_1)
	s_and_not1_b32 s26, s26, exec_lo
	s_and_b32 s31, s34, exec_lo
	s_and_not1_b32 s25, s25, exec_lo
	s_and_b32 s33, s33, exec_lo
	s_or_b32 s26, s26, s31
	s_or_b32 s25, s25, s33
.LBB17_48:                              ;   in Loop: Header=BB17_49 Depth=3
	s_or_b32 exec_lo, exec_lo, s27
	s_delay_alu instid0(SALU_CYCLE_1) | instskip(NEXT) | instid1(SALU_CYCLE_1)
	s_and_b32 s27, exec_lo, s25
	s_or_b32 s23, s27, s23
	s_and_not1_b32 s24, s24, exec_lo
	s_and_b32 s27, s26, exec_lo
	s_delay_alu instid0(SALU_CYCLE_1)
	s_or_b32 s24, s24, s27
	s_and_not1_b32 exec_lo, exec_lo, s23
	s_cbranch_execz .LBB17_58
.LBB17_49:                              ;   Parent Loop BB17_34 Depth=1
                                        ;     Parent Loop BB17_40 Depth=2
                                        ; =>    This Inner Loop Header: Depth=3
	s_delay_alu instid0(VALU_DEP_1) | instskip(SKIP_3) | instid1(VALU_DEP_1)
	v_and_b32_e32 v19, 0xff, v20
	s_or_b32 s26, s26, exec_lo
	s_or_b32 s25, s25, exec_lo
	s_mov_b32 s27, exec_lo
	v_lshl_add_u32 v21, v19, 2, v7
	ds_load_b32 v21, v21
	s_wait_dscnt 0x0
	s_wait_xcnt 0x0
	v_cmpx_ne_u32_e32 -1, v21
	s_cbranch_execz .LBB17_48
; %bb.50:                               ;   in Loop: Header=BB17_49 Depth=3
	s_mov_b32 s33, -1
	s_mov_b32 s34, 0
	s_mov_b32 s31, exec_lo
	v_cmpx_ne_u32_e64 v21, v14
	s_cbranch_execz .LBB17_47
; %bb.51:                               ;   in Loop: Header=BB17_49 Depth=3
	v_add_nc_u32_e32 v19, 1, v20
	s_mov_b32 s35, -1
	s_mov_b32 s34, -1
	s_mov_b32 s33, exec_lo
	s_delay_alu instid0(VALU_DEP_1) | instskip(NEXT) | instid1(VALU_DEP_1)
	v_and_b32_e32 v19, 0xff, v19
	v_lshl_add_u32 v21, v19, 2, v7
	ds_load_b32 v21, v21
	s_wait_dscnt 0x0
	v_cmpx_ne_u32_e32 -1, v21
	s_cbranch_execz .LBB17_46
; %bb.52:                               ;   in Loop: Header=BB17_49 Depth=3
	s_mov_b32 s36, 0
	s_mov_b32 s34, exec_lo
	v_cmpx_ne_u32_e64 v21, v14
	s_cbranch_execz .LBB17_45
; %bb.53:                               ;   in Loop: Header=BB17_49 Depth=3
	v_add_nc_u32_e32 v19, 2, v20
	s_mov_b32 s37, -1
	s_mov_b32 s36, -1
	s_mov_b32 s35, exec_lo
	s_delay_alu instid0(VALU_DEP_1) | instskip(NEXT) | instid1(VALU_DEP_1)
	v_and_b32_e32 v19, 0xff, v19
	v_lshl_add_u32 v21, v19, 2, v7
	ds_load_b32 v21, v21
	s_wait_dscnt 0x0
	v_cmpx_ne_u32_e32 -1, v21
	s_cbranch_execz .LBB17_44
; %bb.54:                               ;   in Loop: Header=BB17_49 Depth=3
	s_mov_b32 s38, 0
	s_mov_b32 s36, exec_lo
	v_cmpx_ne_u32_e64 v21, v14
	s_cbranch_execz .LBB17_43
; %bb.55:                               ;   in Loop: Header=BB17_49 Depth=3
	v_add_nc_u32_e32 v19, 3, v20
	s_mov_b32 s39, -1
	s_mov_b32 s38, -1
	s_mov_b32 s37, exec_lo
	s_delay_alu instid0(VALU_DEP_1) | instskip(NEXT) | instid1(VALU_DEP_1)
	v_and_b32_e32 v19, 0xff, v19
	v_lshl_add_u32 v20, v19, 2, v7
	ds_load_b32 v21, v20
                                        ; implicit-def: $vgpr20
	s_wait_dscnt 0x0
	v_cmpx_ne_u32_e32 -1, v21
	s_cbranch_execz .LBB17_42
; %bb.56:                               ;   in Loop: Header=BB17_49 Depth=3
	s_mov_b32 s38, 0
	s_mov_b32 s40, exec_lo
                                        ; implicit-def: $vgpr20
	v_cmpx_ne_u32_e64 v21, v14
	s_cbranch_execz .LBB17_41
; %bb.57:                               ;   in Loop: Header=BB17_49 Depth=3
	v_add_nc_u32_e32 v15, -4, v15
	v_add_nc_u32_e32 v20, 1, v19
	s_mov_b32 s38, exec_lo
	s_delay_alu instid0(VALU_DEP_2)
	v_cmp_eq_u32_e32 vcc_lo, 0, v15
	s_or_not1_b32 s39, vcc_lo, exec_lo
	s_branch .LBB17_41
.LBB17_58:                              ;   in Loop: Header=BB17_40 Depth=2
	s_or_b32 exec_lo, exec_lo, s23
	s_xor_b32 s23, s24, -1
	s_delay_alu instid0(SALU_CYCLE_1) | instskip(NEXT) | instid1(SALU_CYCLE_1)
	s_and_saveexec_b32 s24, s23
	s_xor_b32 s23, exec_lo, s24
	s_cbranch_execz .LBB17_39
; %bb.59:                               ;   in Loop: Header=BB17_40 Depth=2
	v_lshl_add_u32 v14, v19, 2, v17
	ds_load_b32 v19, v14
	v_lshl_add_u64 v[14:15], v[12:13], 3, s[8:9]
	global_load_b64 v[20:21], v[14:15], off
	s_wait_dscnt 0x0
	global_load_b64 v[22:23], v19, s[8:9] scale_offset
	s_wait_loadcnt 0x0
	s_wait_xcnt 0x1
	v_fma_f64 v[14:15], -v[10:11], v[20:21], v[22:23]
	global_store_b64 v19, v[14:15], s[8:9] scale_offset
	s_branch .LBB17_39
.LBB17_60:
	s_or_b32 exec_lo, exec_lo, s2
	s_mov_b32 s4, -1
	s_mov_b32 s3, exec_lo
	s_wait_storecnt 0x0
	v_cmpx_lt_i32_e32 -1, v6
	s_cbranch_execz .LBB17_76
; %bb.61:
	global_load_b64 v[8:9], v6, s[8:9] scale_offset
	v_cmp_eq_u32_e64 s2, 0, v16
	s_wait_loadcnt 0x0
	v_cmp_gt_f64_e32 vcc_lo, 0, v[8:9]
	v_xor_b32_e32 v7, 0x80000000, v9
	s_delay_alu instid0(VALU_DEP_1)
	v_dual_mov_b32 v10, v8 :: v_dual_cndmask_b32 v11, v9, v7
	s_and_not1_b32 vcc_lo, exec_lo, s29
	s_cbranch_vccnz .LBB17_65
; %bb.62:
	v_cvt_f64_f32_e32 v[12:13], s30
	s_cmp_eq_u64 s[20:21], 8
	s_cselect_b32 vcc_lo, -1, 0
	s_delay_alu instid0(VALU_DEP_1) | instskip(NEXT) | instid1(VALU_DEP_1)
	v_dual_cndmask_b32 v3, v13, v3 :: v_dual_cndmask_b32 v2, v12, v2
	v_cmp_le_f64_e32 vcc_lo, v[10:11], v[2:3]
	s_and_b32 s5, s2, vcc_lo
	s_delay_alu instid0(SALU_CYCLE_1)
	s_and_saveexec_b32 s4, s5
	s_cbranch_execz .LBB17_64
; %bb.63:
	v_mov_b32_e32 v7, 0
	s_delay_alu instid0(VALU_DEP_1)
	v_lshl_add_u64 v[2:3], v[6:7], 3, s[8:9]
	global_store_b64 v[2:3], v[4:5], off
	global_wb scope:SCOPE_DEV
	s_wait_storecnt 0x0
	global_inv scope:SCOPE_DEV
.LBB17_64:
	s_wait_xcnt 0x0
	s_or_b32 exec_lo, exec_lo, s4
	s_mov_b32 s4, 0
.LBB17_65:
	s_delay_alu instid0(SALU_CYCLE_1)
	s_and_not1_b32 vcc_lo, exec_lo, s4
	s_cbranch_vccnz .LBB17_76
; %bb.66:
	s_load_b64 s[0:1], s[0:1], 0x48
	v_add_nc_u32_e32 v2, s28, v0
	s_wait_kmcnt 0x0
	v_cmp_ge_f64_e32 vcc_lo, s[0:1], v[10:11]
	s_and_b32 s1, s2, vcc_lo
	s_delay_alu instid0(SALU_CYCLE_1)
	s_and_saveexec_b32 s0, s1
	s_cbranch_execz .LBB17_71
; %bb.67:
	s_mov_b32 s4, exec_lo
	s_brev_b32 s1, -2
.LBB17_68:                              ; =>This Inner Loop Header: Depth=1
	s_ctz_i32_b32 s5, s4
	s_delay_alu instid0(SALU_CYCLE_1) | instskip(SKIP_1) | instid1(SALU_CYCLE_1)
	v_readlane_b32 s6, v2, s5
	s_lshl_b32 s5, 1, s5
	s_and_not1_b32 s4, s4, s5
	s_min_i32 s1, s1, s6
	s_cmp_lg_u32 s4, 0
	s_cbranch_scc1 .LBB17_68
; %bb.69:
	v_mbcnt_lo_u32_b32 v3, exec_lo, 0
	s_mov_b32 s4, exec_lo
	s_delay_alu instid0(VALU_DEP_1)
	v_cmpx_eq_u32_e32 0, v3
	s_xor_b32 s4, exec_lo, s4
	s_cbranch_execz .LBB17_71
; %bb.70:
	v_dual_mov_b32 v3, 0 :: v_dual_mov_b32 v4, s1
	global_atomic_min_i32 v3, v4, s[18:19] scope:SCOPE_DEV
.LBB17_71:
	s_wait_xcnt 0x0
	s_or_b32 exec_lo, exec_lo, s0
	v_cmp_eq_f64_e32 vcc_lo, 0, v[8:9]
	s_and_b32 s0, s2, vcc_lo
	s_delay_alu instid0(SALU_CYCLE_1)
	s_and_b32 exec_lo, exec_lo, s0
	s_cbranch_execz .LBB17_76
; %bb.72:
	s_mov_b32 s1, exec_lo
	s_brev_b32 s0, -2
.LBB17_73:                              ; =>This Inner Loop Header: Depth=1
	s_ctz_i32_b32 s2, s1
	s_delay_alu instid0(SALU_CYCLE_1) | instskip(SKIP_1) | instid1(SALU_CYCLE_1)
	v_readlane_b32 s4, v2, s2
	s_lshl_b32 s2, 1, s2
	s_and_not1_b32 s1, s1, s2
	s_min_i32 s0, s0, s4
	s_cmp_lg_u32 s1, 0
	s_cbranch_scc1 .LBB17_73
; %bb.74:
	v_mbcnt_lo_u32_b32 v2, exec_lo, 0
	s_mov_b32 s1, exec_lo
	s_delay_alu instid0(VALU_DEP_1)
	v_cmpx_eq_u32_e32 0, v2
	s_xor_b32 s1, exec_lo, s1
	s_cbranch_execz .LBB17_76
; %bb.75:
	v_dual_mov_b32 v2, 0 :: v_dual_mov_b32 v3, s0
	global_atomic_min_i32 v2, v3, s[16:17] scope:SCOPE_DEV
.LBB17_76:
	s_wait_xcnt 0x0
	s_or_b32 exec_lo, exec_lo, s3
	v_cmp_eq_u32_e32 vcc_lo, 0, v16
	global_wb scope:SCOPE_DEV
	s_wait_loadcnt 0x0
	s_wait_storecnt 0x0
	global_inv scope:SCOPE_DEV
	s_and_b32 exec_lo, exec_lo, vcc_lo
	s_cbranch_execz .LBB17_78
; %bb.77:
	v_lshl_add_u64 v[0:1], v[0:1], 2, s[12:13]
	v_mov_b32_e32 v2, 1
	global_wb scope:SCOPE_DEV
	s_wait_loadcnt 0x0
	s_wait_storecnt 0x0
	global_store_b32 v[0:1], v2, off scope:SCOPE_DEV
.LBB17_78:
	s_endpgm
	.section	.rodata,"a",@progbits
	.p2align	6, 0x0
	.amdhsa_kernel _ZN9rocsparseL12csrilu0_hashILj256ELj32ELj8EdEEviPKiS2_PT2_S2_PiS2_S5_S5_d21rocsparse_index_base_imNS_24const_host_device_scalarIfEENS7_IdEENS7_IS3_EEb
		.amdhsa_group_segment_fixed_size 16384
		.amdhsa_private_segment_fixed_size 0
		.amdhsa_kernarg_size 124
		.amdhsa_user_sgpr_count 2
		.amdhsa_user_sgpr_dispatch_ptr 0
		.amdhsa_user_sgpr_queue_ptr 0
		.amdhsa_user_sgpr_kernarg_segment_ptr 1
		.amdhsa_user_sgpr_dispatch_id 0
		.amdhsa_user_sgpr_kernarg_preload_length 0
		.amdhsa_user_sgpr_kernarg_preload_offset 0
		.amdhsa_user_sgpr_private_segment_size 0
		.amdhsa_wavefront_size32 1
		.amdhsa_uses_dynamic_stack 0
		.amdhsa_enable_private_segment 0
		.amdhsa_system_sgpr_workgroup_id_x 1
		.amdhsa_system_sgpr_workgroup_id_y 0
		.amdhsa_system_sgpr_workgroup_id_z 0
		.amdhsa_system_sgpr_workgroup_info 0
		.amdhsa_system_vgpr_workitem_id 0
		.amdhsa_next_free_vgpr 28
		.amdhsa_next_free_sgpr 41
		.amdhsa_named_barrier_count 0
		.amdhsa_reserve_vcc 1
		.amdhsa_float_round_mode_32 0
		.amdhsa_float_round_mode_16_64 0
		.amdhsa_float_denorm_mode_32 3
		.amdhsa_float_denorm_mode_16_64 3
		.amdhsa_fp16_overflow 0
		.amdhsa_memory_ordered 1
		.amdhsa_forward_progress 1
		.amdhsa_inst_pref_size 23
		.amdhsa_round_robin_scheduling 0
		.amdhsa_exception_fp_ieee_invalid_op 0
		.amdhsa_exception_fp_denorm_src 0
		.amdhsa_exception_fp_ieee_div_zero 0
		.amdhsa_exception_fp_ieee_overflow 0
		.amdhsa_exception_fp_ieee_underflow 0
		.amdhsa_exception_fp_ieee_inexact 0
		.amdhsa_exception_int_div_zero 0
	.end_amdhsa_kernel
	.section	.text._ZN9rocsparseL12csrilu0_hashILj256ELj32ELj8EdEEviPKiS2_PT2_S2_PiS2_S5_S5_d21rocsparse_index_base_imNS_24const_host_device_scalarIfEENS7_IdEENS7_IS3_EEb,"axG",@progbits,_ZN9rocsparseL12csrilu0_hashILj256ELj32ELj8EdEEviPKiS2_PT2_S2_PiS2_S5_S5_d21rocsparse_index_base_imNS_24const_host_device_scalarIfEENS7_IdEENS7_IS3_EEb,comdat
.Lfunc_end17:
	.size	_ZN9rocsparseL12csrilu0_hashILj256ELj32ELj8EdEEviPKiS2_PT2_S2_PiS2_S5_S5_d21rocsparse_index_base_imNS_24const_host_device_scalarIfEENS7_IdEENS7_IS3_EEb, .Lfunc_end17-_ZN9rocsparseL12csrilu0_hashILj256ELj32ELj8EdEEviPKiS2_PT2_S2_PiS2_S5_S5_d21rocsparse_index_base_imNS_24const_host_device_scalarIfEENS7_IdEENS7_IS3_EEb
                                        ; -- End function
	.set _ZN9rocsparseL12csrilu0_hashILj256ELj32ELj8EdEEviPKiS2_PT2_S2_PiS2_S5_S5_d21rocsparse_index_base_imNS_24const_host_device_scalarIfEENS7_IdEENS7_IS3_EEb.num_vgpr, 28
	.set _ZN9rocsparseL12csrilu0_hashILj256ELj32ELj8EdEEviPKiS2_PT2_S2_PiS2_S5_S5_d21rocsparse_index_base_imNS_24const_host_device_scalarIfEENS7_IdEENS7_IS3_EEb.num_agpr, 0
	.set _ZN9rocsparseL12csrilu0_hashILj256ELj32ELj8EdEEviPKiS2_PT2_S2_PiS2_S5_S5_d21rocsparse_index_base_imNS_24const_host_device_scalarIfEENS7_IdEENS7_IS3_EEb.numbered_sgpr, 41
	.set _ZN9rocsparseL12csrilu0_hashILj256ELj32ELj8EdEEviPKiS2_PT2_S2_PiS2_S5_S5_d21rocsparse_index_base_imNS_24const_host_device_scalarIfEENS7_IdEENS7_IS3_EEb.num_named_barrier, 0
	.set _ZN9rocsparseL12csrilu0_hashILj256ELj32ELj8EdEEviPKiS2_PT2_S2_PiS2_S5_S5_d21rocsparse_index_base_imNS_24const_host_device_scalarIfEENS7_IdEENS7_IS3_EEb.private_seg_size, 0
	.set _ZN9rocsparseL12csrilu0_hashILj256ELj32ELj8EdEEviPKiS2_PT2_S2_PiS2_S5_S5_d21rocsparse_index_base_imNS_24const_host_device_scalarIfEENS7_IdEENS7_IS3_EEb.uses_vcc, 1
	.set _ZN9rocsparseL12csrilu0_hashILj256ELj32ELj8EdEEviPKiS2_PT2_S2_PiS2_S5_S5_d21rocsparse_index_base_imNS_24const_host_device_scalarIfEENS7_IdEENS7_IS3_EEb.uses_flat_scratch, 0
	.set _ZN9rocsparseL12csrilu0_hashILj256ELj32ELj8EdEEviPKiS2_PT2_S2_PiS2_S5_S5_d21rocsparse_index_base_imNS_24const_host_device_scalarIfEENS7_IdEENS7_IS3_EEb.has_dyn_sized_stack, 0
	.set _ZN9rocsparseL12csrilu0_hashILj256ELj32ELj8EdEEviPKiS2_PT2_S2_PiS2_S5_S5_d21rocsparse_index_base_imNS_24const_host_device_scalarIfEENS7_IdEENS7_IS3_EEb.has_recursion, 0
	.set _ZN9rocsparseL12csrilu0_hashILj256ELj32ELj8EdEEviPKiS2_PT2_S2_PiS2_S5_S5_d21rocsparse_index_base_imNS_24const_host_device_scalarIfEENS7_IdEENS7_IS3_EEb.has_indirect_call, 0
	.section	.AMDGPU.csdata,"",@progbits
; Kernel info:
; codeLenInByte = 2832
; TotalNumSgprs: 43
; NumVgprs: 28
; ScratchSize: 0
; MemoryBound: 0
; FloatMode: 240
; IeeeMode: 1
; LDSByteSize: 16384 bytes/workgroup (compile time only)
; SGPRBlocks: 0
; VGPRBlocks: 1
; NumSGPRsForWavesPerEU: 43
; NumVGPRsForWavesPerEU: 28
; NamedBarCnt: 0
; Occupancy: 16
; WaveLimiterHint : 1
; COMPUTE_PGM_RSRC2:SCRATCH_EN: 0
; COMPUTE_PGM_RSRC2:USER_SGPR: 2
; COMPUTE_PGM_RSRC2:TRAP_HANDLER: 0
; COMPUTE_PGM_RSRC2:TGID_X_EN: 1
; COMPUTE_PGM_RSRC2:TGID_Y_EN: 0
; COMPUTE_PGM_RSRC2:TGID_Z_EN: 0
; COMPUTE_PGM_RSRC2:TIDIG_COMP_CNT: 0
	.section	.text._ZN9rocsparseL12csrilu0_hashILj256ELj32ELj16EdEEviPKiS2_PT2_S2_PiS2_S5_S5_d21rocsparse_index_base_imNS_24const_host_device_scalarIfEENS7_IdEENS7_IS3_EEb,"axG",@progbits,_ZN9rocsparseL12csrilu0_hashILj256ELj32ELj16EdEEviPKiS2_PT2_S2_PiS2_S5_S5_d21rocsparse_index_base_imNS_24const_host_device_scalarIfEENS7_IdEENS7_IS3_EEb,comdat
	.globl	_ZN9rocsparseL12csrilu0_hashILj256ELj32ELj16EdEEviPKiS2_PT2_S2_PiS2_S5_S5_d21rocsparse_index_base_imNS_24const_host_device_scalarIfEENS7_IdEENS7_IS3_EEb ; -- Begin function _ZN9rocsparseL12csrilu0_hashILj256ELj32ELj16EdEEviPKiS2_PT2_S2_PiS2_S5_S5_d21rocsparse_index_base_imNS_24const_host_device_scalarIfEENS7_IdEENS7_IS3_EEb
	.p2align	8
	.type	_ZN9rocsparseL12csrilu0_hashILj256ELj32ELj16EdEEviPKiS2_PT2_S2_PiS2_S5_S5_d21rocsparse_index_base_imNS_24const_host_device_scalarIfEENS7_IdEENS7_IS3_EEb,@function
_ZN9rocsparseL12csrilu0_hashILj256ELj32ELj16EdEEviPKiS2_PT2_S2_PiS2_S5_S5_d21rocsparse_index_base_imNS_24const_host_device_scalarIfEENS7_IdEENS7_IS3_EEb: ; @_ZN9rocsparseL12csrilu0_hashILj256ELj32ELj16EdEEviPKiS2_PT2_S2_PiS2_S5_S5_d21rocsparse_index_base_imNS_24const_host_device_scalarIfEENS7_IdEENS7_IS3_EEb
; %bb.0:
	s_clause 0x2
	s_load_b32 s2, s[0:1], 0x78
	s_load_b64 s[28:29], s[0:1], 0x50
	s_load_b256 s[20:27], s[0:1], 0x58
	s_wait_kmcnt 0x0
	s_bitcmp1_b32 s2, 0
	s_cselect_b32 s2, -1, 0
	s_cmp_eq_u32 s29, 0
	s_cselect_b32 s4, -1, 0
	s_cmp_lg_u32 s29, 0
	s_cselect_b32 s29, -1, 0
	s_or_b32 s6, s4, s2
	s_delay_alu instid0(SALU_CYCLE_1)
	s_xor_b32 s5, s6, -1
	s_and_b32 s2, s4, exec_lo
	s_cselect_b32 s3, 0, s25
	s_cselect_b32 s2, 0, s24
	;; [unrolled: 1-line block ×3, first 2 shown]
	s_and_b32 vcc_lo, exec_lo, s6
	s_cbranch_vccnz .LBB18_2
; %bb.1:
	s_load_b32 s30, s[22:23], 0x0
	s_mov_b64 s[2:3], s[24:25]
.LBB18_2:
	s_delay_alu instid0(SALU_CYCLE_1)
	v_mov_b64_e32 v[4:5], s[2:3]
	v_cndmask_b32_e64 v1, 0, 1, s5
	s_and_not1_b32 vcc_lo, exec_lo, s5
	s_cbranch_vccnz .LBB18_4
; %bb.3:
	v_mov_b32_e32 v2, 0
	flat_load_b64 v[4:5], v2, s[24:25]
.LBB18_4:
	s_and_b32 s2, s4, exec_lo
	s_cselect_b32 s3, 0, s27
	s_cselect_b32 s2, 0, s26
	v_cmp_ne_u32_e32 vcc_lo, 1, v1
	v_mov_b64_e32 v[6:7], s[2:3]
	s_mov_b32 s2, 0
	s_cbranch_vccnz .LBB18_6
; %bb.5:
	v_mov_b32_e32 v1, 0
	flat_load_b64 v[6:7], v1, s[26:27]
.LBB18_6:
	s_wait_xcnt 0x0
	v_dual_lshrrev_b32 v1, 5, v0 :: v_dual_bitop2_b32 v16, 31, v0 bitop3:0x40
	s_delay_alu instid0(VALU_DEP_1) | instskip(SKIP_1) | instid1(VALU_DEP_2)
	v_dual_lshlrev_b32 v3, 11, v1 :: v_dual_lshlrev_b32 v8, 2, v16
	v_or_b32_e32 v2, 0xffffffe0, v16
	v_or3_b32 v3, v3, v8, 0x4000
	v_mov_b32_e32 v8, -1
.LBB18_7:                               ; =>This Inner Loop Header: Depth=1
	s_delay_alu instid0(VALU_DEP_3) | instskip(SKIP_4) | instid1(SALU_CYCLE_1)
	v_add_nc_u32_e32 v2, 32, v2
	ds_store_b32 v3, v8
	v_add_nc_u32_e32 v3, 0x80, v3
	v_cmp_lt_u32_e32 vcc_lo, 0x1df, v2
	s_or_b32 s2, vcc_lo, s2
	s_and_not1_b32 exec_lo, exec_lo, s2
	s_cbranch_execnz .LBB18_7
; %bb.8:
	s_or_b32 exec_lo, exec_lo, s2
	s_load_b32 s2, s[0:1], 0x0
	s_bfe_u32 s3, ttmp6, 0x4000c
	s_and_b32 s4, ttmp6, 15
	s_add_co_i32 s3, s3, 1
	s_getreg_b32 s5, hwreg(HW_REG_IB_STS2, 6, 4)
	s_mul_i32 s3, ttmp9, s3
	s_wait_loadcnt_dscnt 0x0
	s_add_co_i32 s4, s4, s3
	s_cmp_eq_u32 s5, 0
	s_cselect_b32 s3, ttmp9, s4
	s_delay_alu instid0(SALU_CYCLE_1) | instskip(NEXT) | instid1(SALU_CYCLE_1)
	s_lshl_b32 s3, s3, 3
	v_and_or_b32 v1, 0x7fffff8, s3, v1
	s_wait_kmcnt 0x0
	s_delay_alu instid0(VALU_DEP_1)
	v_cmp_gt_i32_e32 vcc_lo, s2, v1
	s_and_saveexec_b32 s2, vcc_lo
	s_cbranch_execz .LBB18_80
; %bb.9:
	s_load_b512 s[4:19], s[0:1], 0x8
	s_mov_b32 s2, exec_lo
	s_wait_kmcnt 0x0
	global_load_b32 v2, v1, s[14:15] scale_offset
	s_wait_xcnt 0x0
	v_lshlrev_b32_e32 v1, 6, v0
	s_delay_alu instid0(VALU_DEP_1) | instskip(NEXT) | instid1(VALU_DEP_1)
	v_and_b32_e32 v9, 0x3800, v1
	v_or_b32_e32 v17, 0x4000, v9
	s_wait_loadcnt 0x0
	v_ashrrev_i32_e32 v3, 31, v2
	s_delay_alu instid0(VALU_DEP_1)
	v_lshl_add_u64 v[10:11], v[2:3], 2, s[4:5]
	global_load_b64 v[12:13], v[10:11], off
	global_load_b32 v8, v2, s[10:11] scale_offset
	s_wait_loadcnt 0x1
	v_subrev_nc_u32_e32 v0, s28, v12
	v_subrev_nc_u32_e32 v1, s28, v13
	s_delay_alu instid0(VALU_DEP_2) | instskip(SKIP_1) | instid1(VALU_DEP_1)
	v_add_nc_u32_e32 v10, v0, v16
	s_wait_xcnt 0x0
	v_cmpx_lt_i32_e64 v10, v1
	s_cbranch_execz .LBB18_32
; %bb.10:
	v_mov_b32_e32 v11, -1
	s_mov_b32 s3, 0
	s_branch .LBB18_12
.LBB18_11:                              ;   in Loop: Header=BB18_12 Depth=1
	s_or_b32 exec_lo, exec_lo, s14
	v_add_nc_u32_e32 v10, 32, v10
	s_delay_alu instid0(VALU_DEP_1) | instskip(SKIP_1) | instid1(SALU_CYCLE_1)
	v_cmp_ge_i32_e32 vcc_lo, v10, v1
	s_or_b32 s3, vcc_lo, s3
	s_and_not1_b32 exec_lo, exec_lo, s3
	s_cbranch_execz .LBB18_32
.LBB18_12:                              ; =>This Loop Header: Depth=1
                                        ;     Child Loop BB18_21 Depth 2
	global_load_b32 v12, v10, s[6:7] scale_offset
	v_mov_b32_e32 v13, 0x200
	s_mov_b32 s14, 0
                                        ; implicit-def: $sgpr15
                                        ; implicit-def: $sgpr22
                                        ; implicit-def: $sgpr23
	s_wait_loadcnt 0x0
	v_mul_lo_u32 v15, 0x67, v12
	s_branch .LBB18_21
.LBB18_13:                              ;   in Loop: Header=BB18_21 Depth=2
	s_or_b32 exec_lo, exec_lo, s37
	s_delay_alu instid0(SALU_CYCLE_1)
	s_or_not1_b32 s35, s35, exec_lo
	s_or_not1_b32 s36, s36, exec_lo
.LBB18_14:                              ;   in Loop: Header=BB18_21 Depth=2
	s_or_b32 exec_lo, exec_lo, s34
	s_delay_alu instid0(SALU_CYCLE_1)
	s_and_b32 s35, s35, exec_lo
	s_or_not1_b32 s34, s36, exec_lo
.LBB18_15:                              ;   in Loop: Header=BB18_21 Depth=2
	s_or_b32 exec_lo, exec_lo, s33
	s_delay_alu instid0(SALU_CYCLE_1)
	s_or_not1_b32 s33, s35, exec_lo
	s_or_not1_b32 s34, s34, exec_lo
.LBB18_16:                              ;   in Loop: Header=BB18_21 Depth=2
	s_or_b32 exec_lo, exec_lo, s31
	s_delay_alu instid0(SALU_CYCLE_1)
	s_and_b32 s33, s33, exec_lo
	s_or_not1_b32 s31, s34, exec_lo
.LBB18_17:                              ;   in Loop: Header=BB18_21 Depth=2
	s_or_b32 exec_lo, exec_lo, s27
	s_delay_alu instid0(SALU_CYCLE_1)
	s_or_not1_b32 s27, s33, exec_lo
	s_or_not1_b32 s31, s31, exec_lo
.LBB18_18:                              ;   in Loop: Header=BB18_21 Depth=2
	s_or_b32 exec_lo, exec_lo, s26
	s_delay_alu instid0(SALU_CYCLE_1)
	s_and_b32 s27, s27, exec_lo
	s_or_not1_b32 s26, s31, exec_lo
.LBB18_19:                              ;   in Loop: Header=BB18_21 Depth=2
	s_or_b32 exec_lo, exec_lo, s25
	s_delay_alu instid0(SALU_CYCLE_1)
	s_and_not1_b32 s23, s23, exec_lo
	s_and_b32 s25, s27, exec_lo
	s_and_not1_b32 s22, s22, exec_lo
	s_and_b32 s26, s26, exec_lo
	s_or_b32 s23, s23, s25
	s_or_b32 s22, s22, s26
.LBB18_20:                              ;   in Loop: Header=BB18_21 Depth=2
	s_or_b32 exec_lo, exec_lo, s24
	s_delay_alu instid0(SALU_CYCLE_1) | instskip(NEXT) | instid1(SALU_CYCLE_1)
	s_and_b32 s24, exec_lo, s22
	s_or_b32 s14, s24, s14
	s_and_not1_b32 s15, s15, exec_lo
	s_and_b32 s24, s23, exec_lo
	s_delay_alu instid0(SALU_CYCLE_1)
	s_or_b32 s15, s15, s24
	s_and_not1_b32 exec_lo, exec_lo, s14
	s_cbranch_execz .LBB18_30
.LBB18_21:                              ;   Parent Loop BB18_12 Depth=1
                                        ; =>  This Inner Loop Header: Depth=2
	s_delay_alu instid0(VALU_DEP_1) | instskip(SKIP_3) | instid1(VALU_DEP_1)
	v_and_b32_e32 v14, 0x1ff, v15
	s_or_b32 s23, s23, exec_lo
	s_or_b32 s22, s22, exec_lo
	s_mov_b32 s24, exec_lo
	v_lshl_add_u32 v18, v14, 2, v17
	ds_load_b32 v19, v18
	s_wait_dscnt 0x0
	s_wait_xcnt 0x0
	v_cmpx_ne_u32_e64 v19, v12
	s_cbranch_execz .LBB18_20
; %bb.22:                               ;   in Loop: Header=BB18_21 Depth=2
	ds_cmpstore_rtn_b32 v18, v18, v12, v11
	s_mov_b32 s26, -1
	s_mov_b32 s27, 0
	s_mov_b32 s25, exec_lo
	s_wait_dscnt 0x0
	v_cmpx_ne_u32_e32 -1, v18
	s_cbranch_execz .LBB18_19
; %bb.23:                               ;   in Loop: Header=BB18_21 Depth=2
	v_add_nc_u32_e32 v14, 1, v15
	s_mov_b32 s31, -1
	s_mov_b32 s27, -1
	s_mov_b32 s26, exec_lo
	s_delay_alu instid0(VALU_DEP_1) | instskip(NEXT) | instid1(VALU_DEP_1)
	v_and_b32_e32 v14, 0x1ff, v14
	v_lshl_add_u32 v18, v14, 2, v17
	ds_load_b32 v19, v18
	s_wait_dscnt 0x0
	v_cmpx_ne_u32_e64 v19, v12
	s_cbranch_execz .LBB18_18
; %bb.24:                               ;   in Loop: Header=BB18_21 Depth=2
	ds_cmpstore_rtn_b32 v18, v18, v12, v11
	s_mov_b32 s33, 0
	s_mov_b32 s27, exec_lo
	s_wait_dscnt 0x0
	v_cmpx_ne_u32_e32 -1, v18
	s_cbranch_execz .LBB18_17
; %bb.25:                               ;   in Loop: Header=BB18_21 Depth=2
	v_add_nc_u32_e32 v14, 2, v15
	s_mov_b32 s34, -1
	s_mov_b32 s33, -1
	s_mov_b32 s31, exec_lo
	s_delay_alu instid0(VALU_DEP_1) | instskip(NEXT) | instid1(VALU_DEP_1)
	v_and_b32_e32 v14, 0x1ff, v14
	v_lshl_add_u32 v18, v14, 2, v17
	ds_load_b32 v19, v18
	s_wait_dscnt 0x0
	v_cmpx_ne_u32_e64 v19, v12
	s_cbranch_execz .LBB18_16
; %bb.26:                               ;   in Loop: Header=BB18_21 Depth=2
	ds_cmpstore_rtn_b32 v18, v18, v12, v11
	s_mov_b32 s35, 0
	s_mov_b32 s33, exec_lo
	s_wait_dscnt 0x0
	v_cmpx_ne_u32_e32 -1, v18
	s_cbranch_execz .LBB18_15
; %bb.27:                               ;   in Loop: Header=BB18_21 Depth=2
	v_add_nc_u32_e32 v14, 3, v15
	s_mov_b32 s36, -1
	s_mov_b32 s35, -1
	s_delay_alu instid0(VALU_DEP_1) | instskip(NEXT) | instid1(VALU_DEP_1)
	v_and_b32_e32 v14, 0x1ff, v14
	v_lshl_add_u32 v18, v14, 2, v17
	ds_load_b32 v15, v18
	s_wait_dscnt 0x0
	v_cmp_ne_u32_e32 vcc_lo, v15, v12
                                        ; implicit-def: $vgpr15
	s_and_saveexec_b32 s34, vcc_lo
	s_cbranch_execz .LBB18_14
; %bb.28:                               ;   in Loop: Header=BB18_21 Depth=2
	ds_cmpstore_rtn_b32 v15, v18, v12, v11
	s_mov_b32 s35, 0
	s_wait_dscnt 0x0
	v_cmp_ne_u32_e32 vcc_lo, -1, v15
                                        ; implicit-def: $vgpr15
	s_and_saveexec_b32 s37, vcc_lo
	s_cbranch_execz .LBB18_13
; %bb.29:                               ;   in Loop: Header=BB18_21 Depth=2
	v_dual_add_nc_u32 v13, -4, v13 :: v_dual_add_nc_u32 v15, 1, v14
	s_mov_b32 s35, exec_lo
	s_delay_alu instid0(VALU_DEP_1)
	v_cmp_eq_u32_e32 vcc_lo, 0, v13
	s_or_not1_b32 s36, vcc_lo, exec_lo
	s_branch .LBB18_13
.LBB18_30:                              ;   in Loop: Header=BB18_12 Depth=1
	s_or_b32 exec_lo, exec_lo, s14
	s_xor_b32 s14, s15, -1
	s_delay_alu instid0(SALU_CYCLE_1) | instskip(NEXT) | instid1(SALU_CYCLE_1)
	s_and_saveexec_b32 s15, s14
	s_xor_b32 s14, exec_lo, s15
	s_cbranch_execz .LBB18_11
; %bb.31:                               ;   in Loop: Header=BB18_12 Depth=1
	v_lshl_add_u32 v12, v14, 2, v9
	ds_store_b32 v12, v10
	s_branch .LBB18_11
.LBB18_32:
	s_or_b32 exec_lo, exec_lo, s2
	s_delay_alu instid0(SALU_CYCLE_1)
	s_mov_b32 s2, exec_lo
	s_wait_loadcnt_dscnt 0x0
	v_cmpx_lt_i32_e64 v0, v8
	s_cbranch_execz .LBB18_62
; %bb.33:
	v_add_nc_u32_e32 v18, 1, v16
	s_mov_b32 s3, 0
	s_branch .LBB18_36
.LBB18_34:                              ;   in Loop: Header=BB18_36 Depth=1
	s_or_b32 exec_lo, exec_lo, s15
	v_add_nc_u32_e32 v0, 1, v0
	s_delay_alu instid0(VALU_DEP_1)
	v_cmp_ge_i32_e32 vcc_lo, v0, v8
	s_or_not1_b32 s15, vcc_lo, exec_lo
.LBB18_35:                              ;   in Loop: Header=BB18_36 Depth=1
	s_or_b32 exec_lo, exec_lo, s14
	s_delay_alu instid0(SALU_CYCLE_1) | instskip(NEXT) | instid1(SALU_CYCLE_1)
	s_and_b32 s14, exec_lo, s15
	s_or_b32 s3, s14, s3
	s_delay_alu instid0(SALU_CYCLE_1)
	s_and_not1_b32 exec_lo, exec_lo, s3
	s_cbranch_execz .LBB18_62
.LBB18_36:                              ; =>This Loop Header: Depth=1
                                        ;     Child Loop BB18_37 Depth 2
                                        ;     Child Loop BB18_42 Depth 2
                                        ;       Child Loop BB18_51 Depth 3
	s_clause 0x1
	global_load_b32 v1, v0, s[6:7] scale_offset
	global_load_b64 v[10:11], v0, s[8:9] scale_offset
	s_mov_b32 s14, 0
	s_wait_loadcnt 0x1
	v_subrev_nc_u32_e32 v12, s28, v1
	v_ashrrev_i32_e32 v1, 31, v0
	s_clause 0x1
	global_load_b32 v20, v12, s[4:5] offset:4 scale_offset
	global_load_b32 v19, v12, s[10:11] scale_offset
	v_ashrrev_i32_e32 v13, 31, v12
	v_lshl_add_u64 v[14:15], v[0:1], 3, s[8:9]
	s_wait_xcnt 0x0
	s_delay_alu instid0(VALU_DEP_2)
	v_lshl_add_u64 v[12:13], v[12:13], 2, s[12:13]
.LBB18_37:                              ;   Parent Loop BB18_36 Depth=1
                                        ; =>  This Inner Loop Header: Depth=2
	global_load_b32 v1, v[12:13], off scope:SCOPE_DEV
	s_wait_loadcnt 0x0
	v_cmp_ne_u32_e32 vcc_lo, 0, v1
	s_or_b32 s14, vcc_lo, s14
	s_wait_xcnt 0x0
	s_and_not1_b32 exec_lo, exec_lo, s14
	s_cbranch_execnz .LBB18_37
; %bb.38:                               ;   in Loop: Header=BB18_36 Depth=1
	s_or_b32 exec_lo, exec_lo, s14
	v_subrev_nc_u32_e32 v1, s28, v20
	v_cmp_eq_u32_e32 vcc_lo, -1, v19
	global_inv scope:SCOPE_DEV
	s_mov_b32 s15, -1
	s_mov_b32 s14, exec_lo
	v_add_nc_u32_e32 v12, -1, v1
	s_delay_alu instid0(VALU_DEP_1)
	v_cndmask_b32_e32 v19, v19, v12, vcc_lo
	global_load_b64 v[12:13], v19, s[8:9] scale_offset
	s_wait_loadcnt 0x0
	s_wait_xcnt 0x0
	v_cmpx_neq_f64_e32 0, v[12:13]
	s_cbranch_execz .LBB18_35
; %bb.39:                               ;   in Loop: Header=BB18_36 Depth=1
	v_div_scale_f64 v[20:21], null, v[12:13], v[12:13], v[10:11]
	s_mov_b32 s15, exec_lo
	v_rcp_f64_e32 v[22:23], v[20:21]
	v_nop
	s_delay_alu instid0(TRANS32_DEP_1) | instskip(NEXT) | instid1(VALU_DEP_1)
	v_fma_f64 v[24:25], -v[20:21], v[22:23], 1.0
	v_fmac_f64_e32 v[22:23], v[22:23], v[24:25]
	s_delay_alu instid0(VALU_DEP_1) | instskip(NEXT) | instid1(VALU_DEP_1)
	v_fma_f64 v[24:25], -v[20:21], v[22:23], 1.0
	v_fmac_f64_e32 v[22:23], v[22:23], v[24:25]
	v_div_scale_f64 v[24:25], vcc_lo, v[10:11], v[12:13], v[10:11]
	s_delay_alu instid0(VALU_DEP_1) | instskip(NEXT) | instid1(VALU_DEP_1)
	v_mul_f64_e32 v[26:27], v[24:25], v[22:23]
	v_fma_f64 v[20:21], -v[20:21], v[26:27], v[24:25]
	s_delay_alu instid0(VALU_DEP_1) | instskip(NEXT) | instid1(VALU_DEP_1)
	v_div_fmas_f64 v[20:21], v[20:21], v[22:23], v[26:27]
	v_div_fixup_f64 v[10:11], v[20:21], v[12:13], v[10:11]
	v_add_nc_u32_e32 v12, v18, v19
	global_store_b64 v[14:15], v[10:11], off
	s_wait_xcnt 0x0
	v_cmpx_lt_i32_e64 v12, v1
	s_cbranch_execz .LBB18_34
; %bb.40:                               ;   in Loop: Header=BB18_36 Depth=1
	s_mov_b32 s22, 0
	s_branch .LBB18_42
.LBB18_41:                              ;   in Loop: Header=BB18_42 Depth=2
	s_wait_xcnt 0x0
	s_or_b32 exec_lo, exec_lo, s23
	v_add_nc_u32_e32 v12, 32, v12
	s_delay_alu instid0(VALU_DEP_1) | instskip(SKIP_1) | instid1(SALU_CYCLE_1)
	v_cmp_ge_i32_e32 vcc_lo, v12, v1
	s_or_b32 s22, vcc_lo, s22
	s_and_not1_b32 exec_lo, exec_lo, s22
	s_cbranch_execz .LBB18_34
.LBB18_42:                              ;   Parent Loop BB18_36 Depth=1
                                        ; =>  This Loop Header: Depth=2
                                        ;       Child Loop BB18_51 Depth 3
	global_load_b32 v14, v12, s[6:7] scale_offset
	v_ashrrev_i32_e32 v13, 31, v12
	v_mov_b32_e32 v15, 0x200
	s_mov_b32 s23, 0
                                        ; implicit-def: $sgpr24
                                        ; implicit-def: $sgpr25
                                        ; implicit-def: $sgpr26
	s_wait_loadcnt 0x0
	v_mul_lo_u32 v20, 0x67, v14
	s_branch .LBB18_51
.LBB18_43:                              ;   in Loop: Header=BB18_51 Depth=3
	s_or_b32 exec_lo, exec_lo, s40
	s_delay_alu instid0(SALU_CYCLE_1)
	s_or_not1_b32 s38, s38, exec_lo
	s_or_not1_b32 s39, s39, exec_lo
.LBB18_44:                              ;   in Loop: Header=BB18_51 Depth=3
	s_or_b32 exec_lo, exec_lo, s37
	s_delay_alu instid0(SALU_CYCLE_1)
	s_and_b32 s38, s38, exec_lo
	s_or_not1_b32 s37, s39, exec_lo
.LBB18_45:                              ;   in Loop: Header=BB18_51 Depth=3
	s_or_b32 exec_lo, exec_lo, s36
	s_delay_alu instid0(SALU_CYCLE_1)
	s_or_not1_b32 s36, s38, exec_lo
	s_or_not1_b32 s37, s37, exec_lo
.LBB18_46:                              ;   in Loop: Header=BB18_51 Depth=3
	s_or_b32 exec_lo, exec_lo, s35
	s_delay_alu instid0(SALU_CYCLE_1)
	s_and_b32 s36, s36, exec_lo
	s_or_not1_b32 s35, s37, exec_lo
.LBB18_47:                              ;   in Loop: Header=BB18_51 Depth=3
	s_or_b32 exec_lo, exec_lo, s34
	s_delay_alu instid0(SALU_CYCLE_1)
	s_or_not1_b32 s34, s36, exec_lo
	s_or_not1_b32 s35, s35, exec_lo
.LBB18_48:                              ;   in Loop: Header=BB18_51 Depth=3
	s_or_b32 exec_lo, exec_lo, s33
	s_delay_alu instid0(SALU_CYCLE_1)
	s_and_b32 s34, s34, exec_lo
	s_or_not1_b32 s33, s35, exec_lo
.LBB18_49:                              ;   in Loop: Header=BB18_51 Depth=3
	s_or_b32 exec_lo, exec_lo, s31
	s_delay_alu instid0(SALU_CYCLE_1)
	s_and_not1_b32 s26, s26, exec_lo
	s_and_b32 s31, s34, exec_lo
	s_and_not1_b32 s25, s25, exec_lo
	s_and_b32 s33, s33, exec_lo
	s_or_b32 s26, s26, s31
	s_or_b32 s25, s25, s33
.LBB18_50:                              ;   in Loop: Header=BB18_51 Depth=3
	s_or_b32 exec_lo, exec_lo, s27
	s_delay_alu instid0(SALU_CYCLE_1) | instskip(NEXT) | instid1(SALU_CYCLE_1)
	s_and_b32 s27, exec_lo, s25
	s_or_b32 s23, s27, s23
	s_and_not1_b32 s24, s24, exec_lo
	s_and_b32 s27, s26, exec_lo
	s_delay_alu instid0(SALU_CYCLE_1)
	s_or_b32 s24, s24, s27
	s_and_not1_b32 exec_lo, exec_lo, s23
	s_cbranch_execz .LBB18_60
.LBB18_51:                              ;   Parent Loop BB18_36 Depth=1
                                        ;     Parent Loop BB18_42 Depth=2
                                        ; =>    This Inner Loop Header: Depth=3
	s_delay_alu instid0(VALU_DEP_1) | instskip(SKIP_3) | instid1(VALU_DEP_1)
	v_and_b32_e32 v19, 0x1ff, v20
	s_or_b32 s26, s26, exec_lo
	s_or_b32 s25, s25, exec_lo
	s_mov_b32 s27, exec_lo
	v_lshl_add_u32 v21, v19, 2, v17
	ds_load_b32 v21, v21
	s_wait_dscnt 0x0
	s_wait_xcnt 0x0
	v_cmpx_ne_u32_e32 -1, v21
	s_cbranch_execz .LBB18_50
; %bb.52:                               ;   in Loop: Header=BB18_51 Depth=3
	s_mov_b32 s33, -1
	s_mov_b32 s34, 0
	s_mov_b32 s31, exec_lo
	v_cmpx_ne_u32_e64 v21, v14
	s_cbranch_execz .LBB18_49
; %bb.53:                               ;   in Loop: Header=BB18_51 Depth=3
	v_add_nc_u32_e32 v19, 1, v20
	s_mov_b32 s35, -1
	s_mov_b32 s34, -1
	s_mov_b32 s33, exec_lo
	s_delay_alu instid0(VALU_DEP_1) | instskip(NEXT) | instid1(VALU_DEP_1)
	v_and_b32_e32 v19, 0x1ff, v19
	v_lshl_add_u32 v21, v19, 2, v17
	ds_load_b32 v21, v21
	s_wait_dscnt 0x0
	v_cmpx_ne_u32_e32 -1, v21
	s_cbranch_execz .LBB18_48
; %bb.54:                               ;   in Loop: Header=BB18_51 Depth=3
	s_mov_b32 s36, 0
	s_mov_b32 s34, exec_lo
	v_cmpx_ne_u32_e64 v21, v14
	s_cbranch_execz .LBB18_47
; %bb.55:                               ;   in Loop: Header=BB18_51 Depth=3
	v_add_nc_u32_e32 v19, 2, v20
	s_mov_b32 s37, -1
	s_mov_b32 s36, -1
	s_mov_b32 s35, exec_lo
	s_delay_alu instid0(VALU_DEP_1) | instskip(NEXT) | instid1(VALU_DEP_1)
	v_and_b32_e32 v19, 0x1ff, v19
	v_lshl_add_u32 v21, v19, 2, v17
	ds_load_b32 v21, v21
	s_wait_dscnt 0x0
	v_cmpx_ne_u32_e32 -1, v21
	s_cbranch_execz .LBB18_46
; %bb.56:                               ;   in Loop: Header=BB18_51 Depth=3
	s_mov_b32 s38, 0
	s_mov_b32 s36, exec_lo
	v_cmpx_ne_u32_e64 v21, v14
	s_cbranch_execz .LBB18_45
; %bb.57:                               ;   in Loop: Header=BB18_51 Depth=3
	v_add_nc_u32_e32 v19, 3, v20
	s_mov_b32 s39, -1
	s_mov_b32 s38, -1
	s_mov_b32 s37, exec_lo
	s_delay_alu instid0(VALU_DEP_1) | instskip(NEXT) | instid1(VALU_DEP_1)
	v_and_b32_e32 v19, 0x1ff, v19
	v_lshl_add_u32 v20, v19, 2, v17
	ds_load_b32 v21, v20
                                        ; implicit-def: $vgpr20
	s_wait_dscnt 0x0
	v_cmpx_ne_u32_e32 -1, v21
	s_cbranch_execz .LBB18_44
; %bb.58:                               ;   in Loop: Header=BB18_51 Depth=3
	s_mov_b32 s38, 0
	s_mov_b32 s40, exec_lo
                                        ; implicit-def: $vgpr20
	v_cmpx_ne_u32_e64 v21, v14
	s_cbranch_execz .LBB18_43
; %bb.59:                               ;   in Loop: Header=BB18_51 Depth=3
	v_add_nc_u32_e32 v15, -4, v15
	v_add_nc_u32_e32 v20, 1, v19
	s_mov_b32 s38, exec_lo
	s_delay_alu instid0(VALU_DEP_2)
	v_cmp_eq_u32_e32 vcc_lo, 0, v15
	s_or_not1_b32 s39, vcc_lo, exec_lo
	s_branch .LBB18_43
.LBB18_60:                              ;   in Loop: Header=BB18_42 Depth=2
	s_or_b32 exec_lo, exec_lo, s23
	s_xor_b32 s23, s24, -1
	s_delay_alu instid0(SALU_CYCLE_1) | instskip(NEXT) | instid1(SALU_CYCLE_1)
	s_and_saveexec_b32 s24, s23
	s_xor_b32 s23, exec_lo, s24
	s_cbranch_execz .LBB18_41
; %bb.61:                               ;   in Loop: Header=BB18_42 Depth=2
	v_lshl_add_u32 v14, v19, 2, v9
	ds_load_b32 v19, v14
	v_lshl_add_u64 v[14:15], v[12:13], 3, s[8:9]
	global_load_b64 v[20:21], v[14:15], off
	s_wait_dscnt 0x0
	global_load_b64 v[22:23], v19, s[8:9] scale_offset
	s_wait_loadcnt 0x0
	s_wait_xcnt 0x1
	v_fma_f64 v[14:15], -v[10:11], v[20:21], v[22:23]
	global_store_b64 v19, v[14:15], s[8:9] scale_offset
	s_branch .LBB18_41
.LBB18_62:
	s_or_b32 exec_lo, exec_lo, s2
	s_mov_b32 s4, -1
	s_mov_b32 s3, exec_lo
	s_wait_storecnt 0x0
	v_cmpx_lt_i32_e32 -1, v8
	s_cbranch_execz .LBB18_78
; %bb.63:
	global_load_b64 v[0:1], v8, s[8:9] scale_offset
	v_cmp_eq_u32_e64 s2, 0, v16
	s_wait_loadcnt 0x0
	v_cmp_gt_f64_e32 vcc_lo, 0, v[0:1]
	v_xor_b32_e32 v9, 0x80000000, v1
	s_delay_alu instid0(VALU_DEP_1)
	v_dual_mov_b32 v10, v0 :: v_dual_cndmask_b32 v11, v1, v9
	s_and_not1_b32 vcc_lo, exec_lo, s29
	s_cbranch_vccnz .LBB18_67
; %bb.64:
	v_cvt_f64_f32_e32 v[12:13], s30
	s_cmp_eq_u64 s[20:21], 8
	s_cselect_b32 vcc_lo, -1, 0
	s_delay_alu instid0(VALU_DEP_1) | instskip(NEXT) | instid1(VALU_DEP_1)
	v_dual_cndmask_b32 v5, v13, v5 :: v_dual_cndmask_b32 v4, v12, v4
	v_cmp_le_f64_e32 vcc_lo, v[10:11], v[4:5]
	s_and_b32 s5, s2, vcc_lo
	s_delay_alu instid0(SALU_CYCLE_1)
	s_and_saveexec_b32 s4, s5
	s_cbranch_execz .LBB18_66
; %bb.65:
	v_mov_b32_e32 v9, 0
	s_delay_alu instid0(VALU_DEP_1)
	v_lshl_add_u64 v[4:5], v[8:9], 3, s[8:9]
	global_store_b64 v[4:5], v[6:7], off
	global_wb scope:SCOPE_DEV
	s_wait_storecnt 0x0
	global_inv scope:SCOPE_DEV
.LBB18_66:
	s_wait_xcnt 0x0
	s_or_b32 exec_lo, exec_lo, s4
	s_mov_b32 s4, 0
.LBB18_67:
	s_delay_alu instid0(SALU_CYCLE_1)
	s_and_not1_b32 vcc_lo, exec_lo, s4
	s_cbranch_vccnz .LBB18_78
; %bb.68:
	s_load_b64 s[0:1], s[0:1], 0x48
	v_add_nc_u32_e32 v4, s28, v2
	s_wait_kmcnt 0x0
	v_cmp_ge_f64_e32 vcc_lo, s[0:1], v[10:11]
	s_and_b32 s1, s2, vcc_lo
	s_delay_alu instid0(SALU_CYCLE_1)
	s_and_saveexec_b32 s0, s1
	s_cbranch_execz .LBB18_73
; %bb.69:
	s_mov_b32 s4, exec_lo
	s_brev_b32 s1, -2
.LBB18_70:                              ; =>This Inner Loop Header: Depth=1
	s_ctz_i32_b32 s5, s4
	s_delay_alu instid0(SALU_CYCLE_1) | instskip(SKIP_1) | instid1(SALU_CYCLE_1)
	v_readlane_b32 s6, v4, s5
	s_lshl_b32 s5, 1, s5
	s_and_not1_b32 s4, s4, s5
	s_min_i32 s1, s1, s6
	s_cmp_lg_u32 s4, 0
	s_cbranch_scc1 .LBB18_70
; %bb.71:
	v_mbcnt_lo_u32_b32 v5, exec_lo, 0
	s_mov_b32 s4, exec_lo
	s_delay_alu instid0(VALU_DEP_1)
	v_cmpx_eq_u32_e32 0, v5
	s_xor_b32 s4, exec_lo, s4
	s_cbranch_execz .LBB18_73
; %bb.72:
	v_dual_mov_b32 v5, 0 :: v_dual_mov_b32 v6, s1
	global_atomic_min_i32 v5, v6, s[18:19] scope:SCOPE_DEV
.LBB18_73:
	s_wait_xcnt 0x0
	s_or_b32 exec_lo, exec_lo, s0
	v_cmp_eq_f64_e32 vcc_lo, 0, v[0:1]
	s_and_b32 s0, s2, vcc_lo
	s_delay_alu instid0(SALU_CYCLE_1)
	s_and_b32 exec_lo, exec_lo, s0
	s_cbranch_execz .LBB18_78
; %bb.74:
	s_mov_b32 s1, exec_lo
	s_brev_b32 s0, -2
.LBB18_75:                              ; =>This Inner Loop Header: Depth=1
	s_ctz_i32_b32 s2, s1
	s_delay_alu instid0(SALU_CYCLE_1) | instskip(SKIP_1) | instid1(SALU_CYCLE_1)
	v_readlane_b32 s4, v4, s2
	s_lshl_b32 s2, 1, s2
	s_and_not1_b32 s1, s1, s2
	s_min_i32 s0, s0, s4
	s_cmp_lg_u32 s1, 0
	s_cbranch_scc1 .LBB18_75
; %bb.76:
	v_mbcnt_lo_u32_b32 v0, exec_lo, 0
	s_mov_b32 s1, exec_lo
	s_delay_alu instid0(VALU_DEP_1)
	v_cmpx_eq_u32_e32 0, v0
	s_xor_b32 s1, exec_lo, s1
	s_cbranch_execz .LBB18_78
; %bb.77:
	v_dual_mov_b32 v0, 0 :: v_dual_mov_b32 v1, s0
	global_atomic_min_i32 v0, v1, s[16:17] scope:SCOPE_DEV
.LBB18_78:
	s_wait_xcnt 0x0
	s_or_b32 exec_lo, exec_lo, s3
	v_cmp_eq_u32_e32 vcc_lo, 0, v16
	global_wb scope:SCOPE_DEV
	s_wait_loadcnt 0x0
	s_wait_storecnt 0x0
	global_inv scope:SCOPE_DEV
	s_and_b32 exec_lo, exec_lo, vcc_lo
	s_cbranch_execz .LBB18_80
; %bb.79:
	v_lshl_add_u64 v[0:1], v[2:3], 2, s[12:13]
	v_mov_b32_e32 v2, 1
	global_wb scope:SCOPE_DEV
	s_wait_loadcnt 0x0
	s_wait_storecnt 0x0
	global_store_b32 v[0:1], v2, off scope:SCOPE_DEV
.LBB18_80:
	s_endpgm
	.section	.rodata,"a",@progbits
	.p2align	6, 0x0
	.amdhsa_kernel _ZN9rocsparseL12csrilu0_hashILj256ELj32ELj16EdEEviPKiS2_PT2_S2_PiS2_S5_S5_d21rocsparse_index_base_imNS_24const_host_device_scalarIfEENS7_IdEENS7_IS3_EEb
		.amdhsa_group_segment_fixed_size 32768
		.amdhsa_private_segment_fixed_size 0
		.amdhsa_kernarg_size 124
		.amdhsa_user_sgpr_count 2
		.amdhsa_user_sgpr_dispatch_ptr 0
		.amdhsa_user_sgpr_queue_ptr 0
		.amdhsa_user_sgpr_kernarg_segment_ptr 1
		.amdhsa_user_sgpr_dispatch_id 0
		.amdhsa_user_sgpr_kernarg_preload_length 0
		.amdhsa_user_sgpr_kernarg_preload_offset 0
		.amdhsa_user_sgpr_private_segment_size 0
		.amdhsa_wavefront_size32 1
		.amdhsa_uses_dynamic_stack 0
		.amdhsa_enable_private_segment 0
		.amdhsa_system_sgpr_workgroup_id_x 1
		.amdhsa_system_sgpr_workgroup_id_y 0
		.amdhsa_system_sgpr_workgroup_id_z 0
		.amdhsa_system_sgpr_workgroup_info 0
		.amdhsa_system_vgpr_workitem_id 0
		.amdhsa_next_free_vgpr 28
		.amdhsa_next_free_sgpr 41
		.amdhsa_named_barrier_count 0
		.amdhsa_reserve_vcc 1
		.amdhsa_float_round_mode_32 0
		.amdhsa_float_round_mode_16_64 0
		.amdhsa_float_denorm_mode_32 3
		.amdhsa_float_denorm_mode_16_64 3
		.amdhsa_fp16_overflow 0
		.amdhsa_memory_ordered 1
		.amdhsa_forward_progress 1
		.amdhsa_inst_pref_size 23
		.amdhsa_round_robin_scheduling 0
		.amdhsa_exception_fp_ieee_invalid_op 0
		.amdhsa_exception_fp_denorm_src 0
		.amdhsa_exception_fp_ieee_div_zero 0
		.amdhsa_exception_fp_ieee_overflow 0
		.amdhsa_exception_fp_ieee_underflow 0
		.amdhsa_exception_fp_ieee_inexact 0
		.amdhsa_exception_int_div_zero 0
	.end_amdhsa_kernel
	.section	.text._ZN9rocsparseL12csrilu0_hashILj256ELj32ELj16EdEEviPKiS2_PT2_S2_PiS2_S5_S5_d21rocsparse_index_base_imNS_24const_host_device_scalarIfEENS7_IdEENS7_IS3_EEb,"axG",@progbits,_ZN9rocsparseL12csrilu0_hashILj256ELj32ELj16EdEEviPKiS2_PT2_S2_PiS2_S5_S5_d21rocsparse_index_base_imNS_24const_host_device_scalarIfEENS7_IdEENS7_IS3_EEb,comdat
.Lfunc_end18:
	.size	_ZN9rocsparseL12csrilu0_hashILj256ELj32ELj16EdEEviPKiS2_PT2_S2_PiS2_S5_S5_d21rocsparse_index_base_imNS_24const_host_device_scalarIfEENS7_IdEENS7_IS3_EEb, .Lfunc_end18-_ZN9rocsparseL12csrilu0_hashILj256ELj32ELj16EdEEviPKiS2_PT2_S2_PiS2_S5_S5_d21rocsparse_index_base_imNS_24const_host_device_scalarIfEENS7_IdEENS7_IS3_EEb
                                        ; -- End function
	.set _ZN9rocsparseL12csrilu0_hashILj256ELj32ELj16EdEEviPKiS2_PT2_S2_PiS2_S5_S5_d21rocsparse_index_base_imNS_24const_host_device_scalarIfEENS7_IdEENS7_IS3_EEb.num_vgpr, 28
	.set _ZN9rocsparseL12csrilu0_hashILj256ELj32ELj16EdEEviPKiS2_PT2_S2_PiS2_S5_S5_d21rocsparse_index_base_imNS_24const_host_device_scalarIfEENS7_IdEENS7_IS3_EEb.num_agpr, 0
	.set _ZN9rocsparseL12csrilu0_hashILj256ELj32ELj16EdEEviPKiS2_PT2_S2_PiS2_S5_S5_d21rocsparse_index_base_imNS_24const_host_device_scalarIfEENS7_IdEENS7_IS3_EEb.numbered_sgpr, 41
	.set _ZN9rocsparseL12csrilu0_hashILj256ELj32ELj16EdEEviPKiS2_PT2_S2_PiS2_S5_S5_d21rocsparse_index_base_imNS_24const_host_device_scalarIfEENS7_IdEENS7_IS3_EEb.num_named_barrier, 0
	.set _ZN9rocsparseL12csrilu0_hashILj256ELj32ELj16EdEEviPKiS2_PT2_S2_PiS2_S5_S5_d21rocsparse_index_base_imNS_24const_host_device_scalarIfEENS7_IdEENS7_IS3_EEb.private_seg_size, 0
	.set _ZN9rocsparseL12csrilu0_hashILj256ELj32ELj16EdEEviPKiS2_PT2_S2_PiS2_S5_S5_d21rocsparse_index_base_imNS_24const_host_device_scalarIfEENS7_IdEENS7_IS3_EEb.uses_vcc, 1
	.set _ZN9rocsparseL12csrilu0_hashILj256ELj32ELj16EdEEviPKiS2_PT2_S2_PiS2_S5_S5_d21rocsparse_index_base_imNS_24const_host_device_scalarIfEENS7_IdEENS7_IS3_EEb.uses_flat_scratch, 0
	.set _ZN9rocsparseL12csrilu0_hashILj256ELj32ELj16EdEEviPKiS2_PT2_S2_PiS2_S5_S5_d21rocsparse_index_base_imNS_24const_host_device_scalarIfEENS7_IdEENS7_IS3_EEb.has_dyn_sized_stack, 0
	.set _ZN9rocsparseL12csrilu0_hashILj256ELj32ELj16EdEEviPKiS2_PT2_S2_PiS2_S5_S5_d21rocsparse_index_base_imNS_24const_host_device_scalarIfEENS7_IdEENS7_IS3_EEb.has_recursion, 0
	.set _ZN9rocsparseL12csrilu0_hashILj256ELj32ELj16EdEEviPKiS2_PT2_S2_PiS2_S5_S5_d21rocsparse_index_base_imNS_24const_host_device_scalarIfEENS7_IdEENS7_IS3_EEb.has_indirect_call, 0
	.section	.AMDGPU.csdata,"",@progbits
; Kernel info:
; codeLenInByte = 2872
; TotalNumSgprs: 43
; NumVgprs: 28
; ScratchSize: 0
; MemoryBound: 0
; FloatMode: 240
; IeeeMode: 1
; LDSByteSize: 32768 bytes/workgroup (compile time only)
; SGPRBlocks: 0
; VGPRBlocks: 1
; NumSGPRsForWavesPerEU: 43
; NumVGPRsForWavesPerEU: 28
; NamedBarCnt: 0
; Occupancy: 16
; WaveLimiterHint : 1
; COMPUTE_PGM_RSRC2:SCRATCH_EN: 0
; COMPUTE_PGM_RSRC2:USER_SGPR: 2
; COMPUTE_PGM_RSRC2:TRAP_HANDLER: 0
; COMPUTE_PGM_RSRC2:TGID_X_EN: 1
; COMPUTE_PGM_RSRC2:TGID_Y_EN: 0
; COMPUTE_PGM_RSRC2:TGID_Z_EN: 0
; COMPUTE_PGM_RSRC2:TIDIG_COMP_CNT: 0
	.section	.text._ZN9rocsparseL17csrilu0_binsearchILj256ELj32ELb0EdEEviPKiS2_PT2_S2_PiS2_S5_S5_d21rocsparse_index_base_imNS_24const_host_device_scalarIfEENS7_IdEENS7_IS3_EEb,"axG",@progbits,_ZN9rocsparseL17csrilu0_binsearchILj256ELj32ELb0EdEEviPKiS2_PT2_S2_PiS2_S5_S5_d21rocsparse_index_base_imNS_24const_host_device_scalarIfEENS7_IdEENS7_IS3_EEb,comdat
	.globl	_ZN9rocsparseL17csrilu0_binsearchILj256ELj32ELb0EdEEviPKiS2_PT2_S2_PiS2_S5_S5_d21rocsparse_index_base_imNS_24const_host_device_scalarIfEENS7_IdEENS7_IS3_EEb ; -- Begin function _ZN9rocsparseL17csrilu0_binsearchILj256ELj32ELb0EdEEviPKiS2_PT2_S2_PiS2_S5_S5_d21rocsparse_index_base_imNS_24const_host_device_scalarIfEENS7_IdEENS7_IS3_EEb
	.p2align	8
	.type	_ZN9rocsparseL17csrilu0_binsearchILj256ELj32ELb0EdEEviPKiS2_PT2_S2_PiS2_S5_S5_d21rocsparse_index_base_imNS_24const_host_device_scalarIfEENS7_IdEENS7_IS3_EEb,@function
_ZN9rocsparseL17csrilu0_binsearchILj256ELj32ELb0EdEEviPKiS2_PT2_S2_PiS2_S5_S5_d21rocsparse_index_base_imNS_24const_host_device_scalarIfEENS7_IdEENS7_IS3_EEb: ; @_ZN9rocsparseL17csrilu0_binsearchILj256ELj32ELb0EdEEviPKiS2_PT2_S2_PiS2_S5_S5_d21rocsparse_index_base_imNS_24const_host_device_scalarIfEENS7_IdEENS7_IS3_EEb
; %bb.0:
	s_clause 0x2
	s_load_b32 s2, s[0:1], 0x78
	s_load_b64 s[28:29], s[0:1], 0x50
	s_load_b256 s[20:27], s[0:1], 0x58
	s_wait_kmcnt 0x0
	s_bitcmp1_b32 s2, 0
	s_cselect_b32 s2, -1, 0
	s_cmp_eq_u32 s29, 0
	s_cselect_b32 s4, -1, 0
	s_cmp_lg_u32 s29, 0
	s_cselect_b32 s29, -1, 0
	s_or_b32 s6, s4, s2
	s_delay_alu instid0(SALU_CYCLE_1)
	s_xor_b32 s5, s6, -1
	s_and_b32 s2, s4, exec_lo
	s_cselect_b32 s3, 0, s25
	s_cselect_b32 s2, 0, s24
	;; [unrolled: 1-line block ×3, first 2 shown]
	s_and_b32 vcc_lo, exec_lo, s6
	s_cbranch_vccnz .LBB19_2
; %bb.1:
	s_load_b32 s30, s[22:23], 0x0
	s_mov_b64 s[2:3], s[24:25]
.LBB19_2:
	s_delay_alu instid0(SALU_CYCLE_1)
	v_mov_b64_e32 v[4:5], s[2:3]
	v_cndmask_b32_e64 v1, 0, 1, s5
	s_and_not1_b32 vcc_lo, exec_lo, s5
	s_cbranch_vccnz .LBB19_4
; %bb.3:
	v_mov_b32_e32 v2, 0
	flat_load_b64 v[4:5], v2, s[24:25]
.LBB19_4:
	s_and_b32 s2, s4, exec_lo
	s_cselect_b32 s3, 0, s27
	s_cselect_b32 s2, 0, s26
	v_cmp_ne_u32_e32 vcc_lo, 1, v1
	v_mov_b64_e32 v[6:7], s[2:3]
	s_cbranch_vccnz .LBB19_6
; %bb.5:
	v_mov_b32_e32 v1, 0
	flat_load_b64 v[6:7], v1, s[26:27]
.LBB19_6:
	s_load_b32 s2, s[0:1], 0x0
	s_bfe_u32 s3, ttmp6, 0x4000c
	s_and_b32 s4, ttmp6, 15
	s_add_co_i32 s3, s3, 1
	s_getreg_b32 s5, hwreg(HW_REG_IB_STS2, 6, 4)
	s_mul_i32 s3, ttmp9, s3
	v_lshrrev_b32_e32 v1, 5, v0
	s_add_co_i32 s4, s4, s3
	s_cmp_eq_u32 s5, 0
	s_cselect_b32 s3, ttmp9, s4
	s_delay_alu instid0(SALU_CYCLE_1) | instskip(NEXT) | instid1(SALU_CYCLE_1)
	s_lshl_b32 s3, s3, 3
	v_and_or_b32 v1, 0x7fffff8, s3, v1
	s_wait_kmcnt 0x0
	s_delay_alu instid0(VALU_DEP_1)
	v_cmp_gt_i32_e32 vcc_lo, s2, v1
	s_and_saveexec_b32 s2, vcc_lo
	s_cbranch_execz .LBB19_42
; %bb.7:
	s_load_b512 s[4:19], s[0:1], 0x8
	s_mov_b32 s2, exec_lo
	s_wait_kmcnt 0x0
	global_load_b32 v2, v1, s[14:15] scale_offset
	v_and_b32_e32 v16, 31, v0
	s_wait_loadcnt 0x0
	s_clause 0x1
	global_load_b32 v1, v2, s[4:5] scale_offset
	global_load_b32 v8, v2, s[10:11] scale_offset
	v_ashrrev_i32_e32 v3, 31, v2
	s_wait_loadcnt 0x1
	v_subrev_nc_u32_e32 v10, s28, v1
	s_wait_loadcnt 0x0
	s_delay_alu instid0(VALU_DEP_1)
	v_cmpx_lt_i32_e64 v10, v8
	s_cbranch_execz .LBB19_24
; %bb.8:
	v_lshl_add_u64 v[0:1], v[2:3], 2, s[4:5]
	v_add_nc_u32_e32 v9, 1, v16
	s_mov_b32 s3, 0
	global_load_b32 v0, v[0:1], off offset:4
	s_wait_loadcnt 0x0
	v_xad_u32 v17, s28, -1, v0
	s_branch .LBB19_11
.LBB19_9:                               ;   in Loop: Header=BB19_11 Depth=1
	s_or_b32 exec_lo, exec_lo, s15
	v_cmp_ge_i32_e32 vcc_lo, v10, v8
	s_or_not1_b32 s15, vcc_lo, exec_lo
.LBB19_10:                              ;   in Loop: Header=BB19_11 Depth=1
	s_or_b32 exec_lo, exec_lo, s14
	s_delay_alu instid0(SALU_CYCLE_1) | instskip(NEXT) | instid1(SALU_CYCLE_1)
	s_and_b32 s14, exec_lo, s15
	s_or_b32 s3, s14, s3
	s_delay_alu instid0(SALU_CYCLE_1)
	s_and_not1_b32 exec_lo, exec_lo, s3
	s_cbranch_execz .LBB19_24
.LBB19_11:                              ; =>This Loop Header: Depth=1
                                        ;     Child Loop BB19_13 Depth 2
                                        ;     Child Loop BB19_18 Depth 2
                                        ;       Child Loop BB19_20 Depth 3
	s_clause 0x1
	global_load_b32 v11, v10, s[6:7] scale_offset
	global_load_b64 v[0:1], v10, s[8:9] scale_offset
	s_mov_b32 s14, exec_lo
	s_wait_loadcnt 0x1
	v_subrev_nc_u32_e32 v12, s28, v11
	s_clause 0x2
	global_load_b32 v19, v12, s[4:5] offset:4 scale_offset
	global_load_b32 v18, v12, s[10:11] scale_offset
	global_load_b32 v11, v12, s[12:13] scale_offset scope:SCOPE_DEV
	s_wait_loadcnt 0x0
	s_wait_xcnt 0x0
	v_cmpx_eq_u32_e32 0, v11
	s_cbranch_execz .LBB19_14
; %bb.12:                               ;   in Loop: Header=BB19_11 Depth=1
	v_ashrrev_i32_e32 v13, 31, v12
	s_mov_b32 s15, 0
	s_delay_alu instid0(VALU_DEP_1)
	v_lshl_add_u64 v[12:13], v[12:13], 2, s[12:13]
.LBB19_13:                              ;   Parent Loop BB19_11 Depth=1
                                        ; =>  This Inner Loop Header: Depth=2
	global_load_b32 v11, v[12:13], off scope:SCOPE_DEV
	s_wait_loadcnt 0x0
	v_cmp_ne_u32_e32 vcc_lo, 0, v11
	s_or_b32 s15, vcc_lo, s15
	s_wait_xcnt 0x0
	s_and_not1_b32 exec_lo, exec_lo, s15
	s_cbranch_execnz .LBB19_13
.LBB19_14:                              ;   in Loop: Header=BB19_11 Depth=1
	s_or_b32 exec_lo, exec_lo, s14
	v_cmp_eq_u32_e32 vcc_lo, -1, v18
	v_ashrrev_i32_e32 v11, 31, v10
	s_wait_dscnt 0x0
	global_inv scope:SCOPE_DEV
	s_mov_b32 s15, -1
	s_mov_b32 s14, exec_lo
	v_lshl_add_u64 v[14:15], v[10:11], 3, s[8:9]
	v_subrev_nc_u32_e32 v11, s28, v19
	s_delay_alu instid0(VALU_DEP_1) | instskip(NEXT) | instid1(VALU_DEP_1)
	v_add_nc_u32_e32 v12, -1, v11
	v_cndmask_b32_e32 v18, v18, v12, vcc_lo
	global_load_b64 v[12:13], v18, s[8:9] scale_offset
	s_wait_loadcnt 0x0
	s_wait_xcnt 0x0
	v_cmpx_neq_f64_e32 0, v[12:13]
	s_xor_b32 s14, exec_lo, s14
	s_cbranch_execz .LBB19_10
; %bb.15:                               ;   in Loop: Header=BB19_11 Depth=1
	v_div_scale_f64 v[20:21], null, v[12:13], v[12:13], v[0:1]
	v_add_nc_u32_e32 v10, 1, v10
	s_mov_b32 s15, exec_lo
	s_delay_alu instid0(VALU_DEP_2) | instskip(SKIP_1) | instid1(TRANS32_DEP_1)
	v_rcp_f64_e32 v[22:23], v[20:21]
	v_nop
	v_fma_f64 v[24:25], -v[20:21], v[22:23], 1.0
	s_delay_alu instid0(VALU_DEP_1) | instskip(NEXT) | instid1(VALU_DEP_1)
	v_fmac_f64_e32 v[22:23], v[22:23], v[24:25]
	v_fma_f64 v[24:25], -v[20:21], v[22:23], 1.0
	s_delay_alu instid0(VALU_DEP_1) | instskip(SKIP_1) | instid1(VALU_DEP_1)
	v_fmac_f64_e32 v[22:23], v[22:23], v[24:25]
	v_div_scale_f64 v[24:25], vcc_lo, v[0:1], v[12:13], v[0:1]
	v_mul_f64_e32 v[26:27], v[24:25], v[22:23]
	s_delay_alu instid0(VALU_DEP_1) | instskip(NEXT) | instid1(VALU_DEP_1)
	v_fma_f64 v[20:21], -v[20:21], v[26:27], v[24:25]
	v_div_fmas_f64 v[20:21], v[20:21], v[22:23], v[26:27]
	s_delay_alu instid0(VALU_DEP_1)
	v_div_fixup_f64 v[0:1], v[20:21], v[12:13], v[0:1]
	v_add_nc_u32_e32 v12, v9, v18
	global_store_b64 v[14:15], v[0:1], off
	s_wait_xcnt 0x0
	v_cmpx_lt_i32_e64 v12, v11
	s_cbranch_execz .LBB19_9
; %bb.16:                               ;   in Loop: Header=BB19_11 Depth=1
	v_mov_b32_e32 v14, v10
	s_mov_b32 s22, 0
	s_branch .LBB19_18
.LBB19_17:                              ;   in Loop: Header=BB19_18 Depth=2
	s_wait_xcnt 0x0
	s_or_b32 exec_lo, exec_lo, s23
	v_add_nc_u32_e32 v12, 32, v12
	s_delay_alu instid0(VALU_DEP_1) | instskip(SKIP_1) | instid1(SALU_CYCLE_1)
	v_cmp_ge_i32_e32 vcc_lo, v12, v11
	s_or_b32 s22, vcc_lo, s22
	s_and_not1_b32 exec_lo, exec_lo, s22
	s_cbranch_execz .LBB19_9
.LBB19_18:                              ;   Parent Loop BB19_11 Depth=1
                                        ; =>  This Loop Header: Depth=2
                                        ;       Child Loop BB19_20 Depth 3
	s_delay_alu instid0(VALU_DEP_1) | instskip(SKIP_1) | instid1(VALU_DEP_1)
	v_add_nc_u32_e32 v13, v14, v17
	s_mov_b32 s23, exec_lo
	v_ashrrev_i32_e32 v13, 1, v13
	s_clause 0x1
	global_load_b32 v15, v12, s[6:7] scale_offset
	global_load_b32 v18, v13, s[6:7] scale_offset
	s_wait_xcnt 0x0
	v_cmpx_lt_i32_e64 v14, v17
	s_cbranch_execz .LBB19_22
; %bb.19:                               ;   in Loop: Header=BB19_18 Depth=2
	v_mov_b32_e32 v19, v17
	s_mov_b32 s24, 0
.LBB19_20:                              ;   Parent Loop BB19_11 Depth=1
                                        ;     Parent Loop BB19_18 Depth=2
                                        ; =>    This Inner Loop Header: Depth=3
	s_wait_loadcnt 0x0
	v_cmp_lt_i32_e32 vcc_lo, v18, v15
	s_delay_alu instid0(VALU_DEP_2) | instskip(NEXT) | instid1(VALU_DEP_1)
	v_dual_cndmask_b32 v19, v13, v19 :: v_dual_add_nc_u32 v20, 1, v13
	v_cndmask_b32_e32 v14, v14, v20, vcc_lo
	s_delay_alu instid0(VALU_DEP_1) | instskip(NEXT) | instid1(VALU_DEP_1)
	v_add_nc_u32_e32 v13, v19, v14
	v_ashrrev_i32_e32 v13, 1, v13
	v_cmp_ge_i32_e32 vcc_lo, v14, v19
	global_load_b32 v18, v13, s[6:7] scale_offset
	s_or_b32 s24, vcc_lo, s24
	s_wait_xcnt 0x0
	s_and_not1_b32 exec_lo, exec_lo, s24
	s_cbranch_execnz .LBB19_20
; %bb.21:                               ;   in Loop: Header=BB19_18 Depth=2
	s_or_b32 exec_lo, exec_lo, s24
.LBB19_22:                              ;   in Loop: Header=BB19_18 Depth=2
	s_delay_alu instid0(SALU_CYCLE_1)
	s_or_b32 exec_lo, exec_lo, s23
	v_ashrrev_i32_e32 v13, 31, v12
	s_mov_b32 s23, exec_lo
	s_wait_loadcnt 0x0
	v_cmpx_eq_u32_e64 v18, v15
	s_cbranch_execz .LBB19_17
; %bb.23:                               ;   in Loop: Header=BB19_18 Depth=2
	v_lshl_add_u64 v[18:19], v[12:13], 3, s[8:9]
	s_clause 0x1
	global_load_b64 v[20:21], v[18:19], off
	global_load_b64 v[22:23], v14, s[8:9] scale_offset
	s_wait_loadcnt 0x0
	s_wait_xcnt 0x1
	v_fma_f64 v[18:19], -v[0:1], v[20:21], v[22:23]
	global_store_b64 v14, v[18:19], s[8:9] scale_offset
	s_branch .LBB19_17
.LBB19_24:
	s_or_b32 exec_lo, exec_lo, s2
	s_mov_b32 s4, -1
	s_mov_b32 s3, exec_lo
	s_wait_storecnt_dscnt 0x0
	v_cmpx_lt_i32_e32 -1, v8
	s_cbranch_execz .LBB19_40
; %bb.25:
	global_load_b64 v[0:1], v8, s[8:9] scale_offset
	v_cmp_eq_u32_e64 s2, 0, v16
	s_wait_loadcnt 0x0
	v_cmp_gt_f64_e32 vcc_lo, 0, v[0:1]
	v_xor_b32_e32 v9, 0x80000000, v1
	s_delay_alu instid0(VALU_DEP_1)
	v_dual_mov_b32 v10, v0 :: v_dual_cndmask_b32 v11, v1, v9
	s_and_not1_b32 vcc_lo, exec_lo, s29
	s_cbranch_vccnz .LBB19_29
; %bb.26:
	v_cvt_f64_f32_e32 v[12:13], s30
	s_cmp_eq_u64 s[20:21], 8
	s_cselect_b32 vcc_lo, -1, 0
	s_delay_alu instid0(VALU_DEP_1) | instskip(NEXT) | instid1(VALU_DEP_1)
	v_dual_cndmask_b32 v5, v13, v5 :: v_dual_cndmask_b32 v4, v12, v4
	v_cmp_le_f64_e32 vcc_lo, v[10:11], v[4:5]
	s_and_b32 s5, s2, vcc_lo
	s_delay_alu instid0(SALU_CYCLE_1)
	s_and_saveexec_b32 s4, s5
	s_cbranch_execz .LBB19_28
; %bb.27:
	v_mov_b32_e32 v9, 0
	s_delay_alu instid0(VALU_DEP_1)
	v_lshl_add_u64 v[4:5], v[8:9], 3, s[8:9]
	global_store_b64 v[4:5], v[6:7], off
.LBB19_28:
	s_wait_xcnt 0x0
	s_or_b32 exec_lo, exec_lo, s4
	s_mov_b32 s4, 0
.LBB19_29:
	s_delay_alu instid0(SALU_CYCLE_1)
	s_and_not1_b32 vcc_lo, exec_lo, s4
	s_cbranch_vccnz .LBB19_40
; %bb.30:
	s_load_b64 s[0:1], s[0:1], 0x48
	v_add_nc_u32_e32 v4, s28, v2
	s_wait_kmcnt 0x0
	v_cmp_ge_f64_e32 vcc_lo, s[0:1], v[10:11]
	s_and_b32 s1, s2, vcc_lo
	s_delay_alu instid0(SALU_CYCLE_1)
	s_and_saveexec_b32 s0, s1
	s_cbranch_execz .LBB19_35
; %bb.31:
	s_mov_b32 s4, exec_lo
	s_brev_b32 s1, -2
.LBB19_32:                              ; =>This Inner Loop Header: Depth=1
	s_ctz_i32_b32 s5, s4
	s_delay_alu instid0(SALU_CYCLE_1) | instskip(SKIP_1) | instid1(SALU_CYCLE_1)
	v_readlane_b32 s6, v4, s5
	s_lshl_b32 s5, 1, s5
	s_and_not1_b32 s4, s4, s5
	s_min_i32 s1, s1, s6
	s_cmp_lg_u32 s4, 0
	s_cbranch_scc1 .LBB19_32
; %bb.33:
	v_mbcnt_lo_u32_b32 v5, exec_lo, 0
	s_mov_b32 s4, exec_lo
	s_delay_alu instid0(VALU_DEP_1)
	v_cmpx_eq_u32_e32 0, v5
	s_xor_b32 s4, exec_lo, s4
	s_cbranch_execz .LBB19_35
; %bb.34:
	v_dual_mov_b32 v5, 0 :: v_dual_mov_b32 v6, s1
	global_atomic_min_i32 v5, v6, s[18:19] scope:SCOPE_DEV
.LBB19_35:
	s_wait_xcnt 0x0
	s_or_b32 exec_lo, exec_lo, s0
	v_cmp_eq_f64_e32 vcc_lo, 0, v[0:1]
	s_and_b32 s0, s2, vcc_lo
	s_delay_alu instid0(SALU_CYCLE_1)
	s_and_b32 exec_lo, exec_lo, s0
	s_cbranch_execz .LBB19_40
; %bb.36:
	s_mov_b32 s1, exec_lo
	s_brev_b32 s0, -2
.LBB19_37:                              ; =>This Inner Loop Header: Depth=1
	s_ctz_i32_b32 s2, s1
	s_delay_alu instid0(SALU_CYCLE_1) | instskip(SKIP_1) | instid1(SALU_CYCLE_1)
	v_readlane_b32 s4, v4, s2
	s_lshl_b32 s2, 1, s2
	s_and_not1_b32 s1, s1, s2
	s_min_i32 s0, s0, s4
	s_cmp_lg_u32 s1, 0
	s_cbranch_scc1 .LBB19_37
; %bb.38:
	v_mbcnt_lo_u32_b32 v0, exec_lo, 0
	s_mov_b32 s1, exec_lo
	s_delay_alu instid0(VALU_DEP_1)
	v_cmpx_eq_u32_e32 0, v0
	s_xor_b32 s1, exec_lo, s1
	s_cbranch_execz .LBB19_40
; %bb.39:
	v_dual_mov_b32 v0, 0 :: v_dual_mov_b32 v1, s0
	global_atomic_min_i32 v0, v1, s[16:17] scope:SCOPE_DEV
.LBB19_40:
	s_wait_xcnt 0x0
	s_or_b32 exec_lo, exec_lo, s3
	v_cmp_eq_u32_e32 vcc_lo, 0, v16
	global_wb scope:SCOPE_DEV
	s_wait_storecnt 0x0
	global_inv scope:SCOPE_DEV
	s_and_b32 exec_lo, exec_lo, vcc_lo
	s_cbranch_execz .LBB19_42
; %bb.41:
	v_lshl_add_u64 v[0:1], v[2:3], 2, s[12:13]
	v_mov_b32_e32 v2, 1
	global_wb scope:SCOPE_DEV
	s_wait_loadcnt 0x0
	s_wait_storecnt 0x0
	global_store_b32 v[0:1], v2, off scope:SCOPE_DEV
.LBB19_42:
	s_endpgm
	.section	.rodata,"a",@progbits
	.p2align	6, 0x0
	.amdhsa_kernel _ZN9rocsparseL17csrilu0_binsearchILj256ELj32ELb0EdEEviPKiS2_PT2_S2_PiS2_S5_S5_d21rocsparse_index_base_imNS_24const_host_device_scalarIfEENS7_IdEENS7_IS3_EEb
		.amdhsa_group_segment_fixed_size 0
		.amdhsa_private_segment_fixed_size 0
		.amdhsa_kernarg_size 124
		.amdhsa_user_sgpr_count 2
		.amdhsa_user_sgpr_dispatch_ptr 0
		.amdhsa_user_sgpr_queue_ptr 0
		.amdhsa_user_sgpr_kernarg_segment_ptr 1
		.amdhsa_user_sgpr_dispatch_id 0
		.amdhsa_user_sgpr_kernarg_preload_length 0
		.amdhsa_user_sgpr_kernarg_preload_offset 0
		.amdhsa_user_sgpr_private_segment_size 0
		.amdhsa_wavefront_size32 1
		.amdhsa_uses_dynamic_stack 0
		.amdhsa_enable_private_segment 0
		.amdhsa_system_sgpr_workgroup_id_x 1
		.amdhsa_system_sgpr_workgroup_id_y 0
		.amdhsa_system_sgpr_workgroup_id_z 0
		.amdhsa_system_sgpr_workgroup_info 0
		.amdhsa_system_vgpr_workitem_id 0
		.amdhsa_next_free_vgpr 28
		.amdhsa_next_free_sgpr 31
		.amdhsa_named_barrier_count 0
		.amdhsa_reserve_vcc 1
		.amdhsa_float_round_mode_32 0
		.amdhsa_float_round_mode_16_64 0
		.amdhsa_float_denorm_mode_32 3
		.amdhsa_float_denorm_mode_16_64 3
		.amdhsa_fp16_overflow 0
		.amdhsa_memory_ordered 1
		.amdhsa_forward_progress 1
		.amdhsa_inst_pref_size 13
		.amdhsa_round_robin_scheduling 0
		.amdhsa_exception_fp_ieee_invalid_op 0
		.amdhsa_exception_fp_denorm_src 0
		.amdhsa_exception_fp_ieee_div_zero 0
		.amdhsa_exception_fp_ieee_overflow 0
		.amdhsa_exception_fp_ieee_underflow 0
		.amdhsa_exception_fp_ieee_inexact 0
		.amdhsa_exception_int_div_zero 0
	.end_amdhsa_kernel
	.section	.text._ZN9rocsparseL17csrilu0_binsearchILj256ELj32ELb0EdEEviPKiS2_PT2_S2_PiS2_S5_S5_d21rocsparse_index_base_imNS_24const_host_device_scalarIfEENS7_IdEENS7_IS3_EEb,"axG",@progbits,_ZN9rocsparseL17csrilu0_binsearchILj256ELj32ELb0EdEEviPKiS2_PT2_S2_PiS2_S5_S5_d21rocsparse_index_base_imNS_24const_host_device_scalarIfEENS7_IdEENS7_IS3_EEb,comdat
.Lfunc_end19:
	.size	_ZN9rocsparseL17csrilu0_binsearchILj256ELj32ELb0EdEEviPKiS2_PT2_S2_PiS2_S5_S5_d21rocsparse_index_base_imNS_24const_host_device_scalarIfEENS7_IdEENS7_IS3_EEb, .Lfunc_end19-_ZN9rocsparseL17csrilu0_binsearchILj256ELj32ELb0EdEEviPKiS2_PT2_S2_PiS2_S5_S5_d21rocsparse_index_base_imNS_24const_host_device_scalarIfEENS7_IdEENS7_IS3_EEb
                                        ; -- End function
	.set _ZN9rocsparseL17csrilu0_binsearchILj256ELj32ELb0EdEEviPKiS2_PT2_S2_PiS2_S5_S5_d21rocsparse_index_base_imNS_24const_host_device_scalarIfEENS7_IdEENS7_IS3_EEb.num_vgpr, 28
	.set _ZN9rocsparseL17csrilu0_binsearchILj256ELj32ELb0EdEEviPKiS2_PT2_S2_PiS2_S5_S5_d21rocsparse_index_base_imNS_24const_host_device_scalarIfEENS7_IdEENS7_IS3_EEb.num_agpr, 0
	.set _ZN9rocsparseL17csrilu0_binsearchILj256ELj32ELb0EdEEviPKiS2_PT2_S2_PiS2_S5_S5_d21rocsparse_index_base_imNS_24const_host_device_scalarIfEENS7_IdEENS7_IS3_EEb.numbered_sgpr, 31
	.set _ZN9rocsparseL17csrilu0_binsearchILj256ELj32ELb0EdEEviPKiS2_PT2_S2_PiS2_S5_S5_d21rocsparse_index_base_imNS_24const_host_device_scalarIfEENS7_IdEENS7_IS3_EEb.num_named_barrier, 0
	.set _ZN9rocsparseL17csrilu0_binsearchILj256ELj32ELb0EdEEviPKiS2_PT2_S2_PiS2_S5_S5_d21rocsparse_index_base_imNS_24const_host_device_scalarIfEENS7_IdEENS7_IS3_EEb.private_seg_size, 0
	.set _ZN9rocsparseL17csrilu0_binsearchILj256ELj32ELb0EdEEviPKiS2_PT2_S2_PiS2_S5_S5_d21rocsparse_index_base_imNS_24const_host_device_scalarIfEENS7_IdEENS7_IS3_EEb.uses_vcc, 1
	.set _ZN9rocsparseL17csrilu0_binsearchILj256ELj32ELb0EdEEviPKiS2_PT2_S2_PiS2_S5_S5_d21rocsparse_index_base_imNS_24const_host_device_scalarIfEENS7_IdEENS7_IS3_EEb.uses_flat_scratch, 0
	.set _ZN9rocsparseL17csrilu0_binsearchILj256ELj32ELb0EdEEviPKiS2_PT2_S2_PiS2_S5_S5_d21rocsparse_index_base_imNS_24const_host_device_scalarIfEENS7_IdEENS7_IS3_EEb.has_dyn_sized_stack, 0
	.set _ZN9rocsparseL17csrilu0_binsearchILj256ELj32ELb0EdEEviPKiS2_PT2_S2_PiS2_S5_S5_d21rocsparse_index_base_imNS_24const_host_device_scalarIfEENS7_IdEENS7_IS3_EEb.has_recursion, 0
	.set _ZN9rocsparseL17csrilu0_binsearchILj256ELj32ELb0EdEEviPKiS2_PT2_S2_PiS2_S5_S5_d21rocsparse_index_base_imNS_24const_host_device_scalarIfEENS7_IdEENS7_IS3_EEb.has_indirect_call, 0
	.section	.AMDGPU.csdata,"",@progbits
; Kernel info:
; codeLenInByte = 1636
; TotalNumSgprs: 33
; NumVgprs: 28
; ScratchSize: 0
; MemoryBound: 0
; FloatMode: 240
; IeeeMode: 1
; LDSByteSize: 0 bytes/workgroup (compile time only)
; SGPRBlocks: 0
; VGPRBlocks: 1
; NumSGPRsForWavesPerEU: 33
; NumVGPRsForWavesPerEU: 28
; NamedBarCnt: 0
; Occupancy: 16
; WaveLimiterHint : 1
; COMPUTE_PGM_RSRC2:SCRATCH_EN: 0
; COMPUTE_PGM_RSRC2:USER_SGPR: 2
; COMPUTE_PGM_RSRC2:TRAP_HANDLER: 0
; COMPUTE_PGM_RSRC2:TGID_X_EN: 1
; COMPUTE_PGM_RSRC2:TGID_Y_EN: 0
; COMPUTE_PGM_RSRC2:TGID_Z_EN: 0
; COMPUTE_PGM_RSRC2:TIDIG_COMP_CNT: 0
	.section	.text._ZN9rocsparseL12csrilu0_hashILj256ELj64ELj1EdEEviPKiS2_PT2_S2_PiS2_S5_S5_d21rocsparse_index_base_imNS_24const_host_device_scalarIfEENS7_IdEENS7_IS3_EEb,"axG",@progbits,_ZN9rocsparseL12csrilu0_hashILj256ELj64ELj1EdEEviPKiS2_PT2_S2_PiS2_S5_S5_d21rocsparse_index_base_imNS_24const_host_device_scalarIfEENS7_IdEENS7_IS3_EEb,comdat
	.globl	_ZN9rocsparseL12csrilu0_hashILj256ELj64ELj1EdEEviPKiS2_PT2_S2_PiS2_S5_S5_d21rocsparse_index_base_imNS_24const_host_device_scalarIfEENS7_IdEENS7_IS3_EEb ; -- Begin function _ZN9rocsparseL12csrilu0_hashILj256ELj64ELj1EdEEviPKiS2_PT2_S2_PiS2_S5_S5_d21rocsparse_index_base_imNS_24const_host_device_scalarIfEENS7_IdEENS7_IS3_EEb
	.p2align	8
	.type	_ZN9rocsparseL12csrilu0_hashILj256ELj64ELj1EdEEviPKiS2_PT2_S2_PiS2_S5_S5_d21rocsparse_index_base_imNS_24const_host_device_scalarIfEENS7_IdEENS7_IS3_EEb,@function
_ZN9rocsparseL12csrilu0_hashILj256ELj64ELj1EdEEviPKiS2_PT2_S2_PiS2_S5_S5_d21rocsparse_index_base_imNS_24const_host_device_scalarIfEENS7_IdEENS7_IS3_EEb: ; @_ZN9rocsparseL12csrilu0_hashILj256ELj64ELj1EdEEviPKiS2_PT2_S2_PiS2_S5_S5_d21rocsparse_index_base_imNS_24const_host_device_scalarIfEENS7_IdEENS7_IS3_EEb
; %bb.0:
	s_clause 0x2
	s_load_b32 s2, s[0:1], 0x78
	s_load_b64 s[28:29], s[0:1], 0x50
	s_load_b256 s[20:27], s[0:1], 0x58
	s_wait_kmcnt 0x0
	s_bitcmp1_b32 s2, 0
	s_cselect_b32 s2, -1, 0
	s_cmp_eq_u32 s29, 0
	s_cselect_b32 s4, -1, 0
	s_cmp_lg_u32 s29, 0
	s_cselect_b32 s29, -1, 0
	s_or_b32 s6, s4, s2
	s_delay_alu instid0(SALU_CYCLE_1)
	s_xor_b32 s5, s6, -1
	s_and_b32 s2, s4, exec_lo
	s_cselect_b32 s3, 0, s25
	s_cselect_b32 s2, 0, s24
	;; [unrolled: 1-line block ×3, first 2 shown]
	s_and_b32 vcc_lo, exec_lo, s6
	s_cbranch_vccnz .LBB20_2
; %bb.1:
	s_load_b32 s30, s[22:23], 0x0
	s_mov_b64 s[2:3], s[24:25]
.LBB20_2:
	s_delay_alu instid0(SALU_CYCLE_1)
	v_mov_b64_e32 v[2:3], s[2:3]
	v_cndmask_b32_e64 v1, 0, 1, s5
	s_and_not1_b32 vcc_lo, exec_lo, s5
	s_cbranch_vccnz .LBB20_4
; %bb.3:
	v_mov_b32_e32 v2, 0
	flat_load_b64 v[2:3], v2, s[24:25]
.LBB20_4:
	s_and_b32 s2, s4, exec_lo
	s_cselect_b32 s3, 0, s27
	s_cselect_b32 s2, 0, s26
	v_cmp_ne_u32_e32 vcc_lo, 1, v1
	v_mov_b64_e32 v[4:5], s[2:3]
	s_cbranch_vccnz .LBB20_6
; %bb.5:
	v_mov_b32_e32 v1, 0
	flat_load_b64 v[4:5], v1, s[26:27]
.LBB20_6:
	s_load_b32 s2, s[0:1], 0x0
	s_bfe_u32 s3, ttmp6, 0x4000c
	s_and_b32 s4, ttmp6, 15
	s_add_co_i32 s3, s3, 1
	s_getreg_b32 s5, hwreg(HW_REG_IB_STS2, 6, 4)
	s_mul_i32 s3, ttmp9, s3
	v_and_b32_e32 v16, 63, v0
	s_add_co_i32 s4, s4, s3
	s_cmp_eq_u32 s5, 0
	v_and_b32_e32 v11, 0xc0, v0
	v_lshrrev_b32_e32 v0, 6, v0
	s_cselect_b32 s3, ttmp9, s4
	v_mov_b32_e32 v6, -1
	s_lshl_b32 s3, s3, 2
	v_lshl_or_b32 v7, v11, 2, 0x400
	v_and_or_b32 v0, 0x3fffffc, s3, v0
	s_delay_alu instid0(VALU_DEP_2) | instskip(SKIP_1) | instid1(VALU_DEP_2)
	v_lshl_or_b32 v1, v16, 2, v7
	s_wait_kmcnt 0x0
	v_cmp_gt_i32_e32 vcc_lo, s2, v0
	ds_store_b32 v1, v6
	s_wait_loadcnt_dscnt 0x0
	s_and_saveexec_b32 s2, vcc_lo
	s_cbranch_execz .LBB20_78
; %bb.7:
	s_load_b512 s[4:19], s[0:1], 0x8
	s_mov_b32 s2, exec_lo
	v_lshlrev_b32_e32 v17, 2, v11
	s_wait_kmcnt 0x0
	global_load_b32 v0, v0, s[14:15] scale_offset
	s_wait_loadcnt 0x0
	v_ashrrev_i32_e32 v1, 31, v0
	s_delay_alu instid0(VALU_DEP_1)
	v_lshl_add_u64 v[8:9], v[0:1], 2, s[4:5]
	global_load_b64 v[12:13], v[8:9], off
	global_load_b32 v6, v0, s[10:11] scale_offset
	s_wait_loadcnt 0x1
	s_wait_xcnt 0x1
	v_subrev_nc_u32_e32 v8, s28, v12
	v_subrev_nc_u32_e32 v9, s28, v13
	s_delay_alu instid0(VALU_DEP_2) | instskip(SKIP_1) | instid1(VALU_DEP_1)
	v_add_nc_u32_e32 v10, v8, v16
	s_wait_xcnt 0x0
	v_cmpx_lt_i32_e64 v10, v9
	s_cbranch_execz .LBB20_30
; %bb.8:
	v_mov_b32_e32 v11, -1
	s_mov_b32 s3, 0
	s_branch .LBB20_10
.LBB20_9:                               ;   in Loop: Header=BB20_10 Depth=1
	s_or_b32 exec_lo, exec_lo, s14
	v_add_nc_u32_e32 v10, 64, v10
	s_delay_alu instid0(VALU_DEP_1) | instskip(SKIP_1) | instid1(SALU_CYCLE_1)
	v_cmp_ge_i32_e32 vcc_lo, v10, v9
	s_or_b32 s3, vcc_lo, s3
	s_and_not1_b32 exec_lo, exec_lo, s3
	s_cbranch_execz .LBB20_30
.LBB20_10:                              ; =>This Loop Header: Depth=1
                                        ;     Child Loop BB20_19 Depth 2
	global_load_b32 v12, v10, s[6:7] scale_offset
	v_mov_b32_e32 v13, 64
	s_mov_b32 s14, 0
                                        ; implicit-def: $sgpr15
                                        ; implicit-def: $sgpr22
                                        ; implicit-def: $sgpr23
	s_wait_loadcnt 0x0
	v_mul_lo_u32 v15, v12, 39
	s_branch .LBB20_19
.LBB20_11:                              ;   in Loop: Header=BB20_19 Depth=2
	s_or_b32 exec_lo, exec_lo, s37
	s_delay_alu instid0(SALU_CYCLE_1)
	s_or_not1_b32 s35, s35, exec_lo
	s_or_not1_b32 s36, s36, exec_lo
.LBB20_12:                              ;   in Loop: Header=BB20_19 Depth=2
	s_or_b32 exec_lo, exec_lo, s34
	s_delay_alu instid0(SALU_CYCLE_1)
	s_and_b32 s35, s35, exec_lo
	s_or_not1_b32 s34, s36, exec_lo
.LBB20_13:                              ;   in Loop: Header=BB20_19 Depth=2
	s_or_b32 exec_lo, exec_lo, s33
	s_delay_alu instid0(SALU_CYCLE_1)
	s_or_not1_b32 s33, s35, exec_lo
	s_or_not1_b32 s34, s34, exec_lo
.LBB20_14:                              ;   in Loop: Header=BB20_19 Depth=2
	s_or_b32 exec_lo, exec_lo, s31
	s_delay_alu instid0(SALU_CYCLE_1)
	s_and_b32 s33, s33, exec_lo
	s_or_not1_b32 s31, s34, exec_lo
.LBB20_15:                              ;   in Loop: Header=BB20_19 Depth=2
	s_or_b32 exec_lo, exec_lo, s27
	s_delay_alu instid0(SALU_CYCLE_1)
	s_or_not1_b32 s27, s33, exec_lo
	s_or_not1_b32 s31, s31, exec_lo
.LBB20_16:                              ;   in Loop: Header=BB20_19 Depth=2
	s_or_b32 exec_lo, exec_lo, s26
	s_delay_alu instid0(SALU_CYCLE_1)
	s_and_b32 s27, s27, exec_lo
	s_or_not1_b32 s26, s31, exec_lo
.LBB20_17:                              ;   in Loop: Header=BB20_19 Depth=2
	s_or_b32 exec_lo, exec_lo, s25
	s_delay_alu instid0(SALU_CYCLE_1)
	s_and_not1_b32 s23, s23, exec_lo
	s_and_b32 s25, s27, exec_lo
	s_and_not1_b32 s22, s22, exec_lo
	s_and_b32 s26, s26, exec_lo
	s_or_b32 s23, s23, s25
	s_or_b32 s22, s22, s26
.LBB20_18:                              ;   in Loop: Header=BB20_19 Depth=2
	s_or_b32 exec_lo, exec_lo, s24
	s_delay_alu instid0(SALU_CYCLE_1) | instskip(NEXT) | instid1(SALU_CYCLE_1)
	s_and_b32 s24, exec_lo, s22
	s_or_b32 s14, s24, s14
	s_and_not1_b32 s15, s15, exec_lo
	s_and_b32 s24, s23, exec_lo
	s_delay_alu instid0(SALU_CYCLE_1)
	s_or_b32 s15, s15, s24
	s_and_not1_b32 exec_lo, exec_lo, s14
	s_cbranch_execz .LBB20_28
.LBB20_19:                              ;   Parent Loop BB20_10 Depth=1
                                        ; =>  This Inner Loop Header: Depth=2
	s_delay_alu instid0(VALU_DEP_1) | instskip(SKIP_3) | instid1(VALU_DEP_1)
	v_and_b32_e32 v14, 63, v15
	s_or_b32 s23, s23, exec_lo
	s_or_b32 s22, s22, exec_lo
	s_mov_b32 s24, exec_lo
	v_lshl_add_u32 v18, v14, 2, v7
	ds_load_b32 v19, v18
	s_wait_dscnt 0x0
	s_wait_xcnt 0x0
	v_cmpx_ne_u32_e64 v19, v12
	s_cbranch_execz .LBB20_18
; %bb.20:                               ;   in Loop: Header=BB20_19 Depth=2
	ds_cmpstore_rtn_b32 v18, v18, v12, v11
	s_mov_b32 s26, -1
	s_mov_b32 s27, 0
	s_mov_b32 s25, exec_lo
	s_wait_dscnt 0x0
	v_cmpx_ne_u32_e32 -1, v18
	s_cbranch_execz .LBB20_17
; %bb.21:                               ;   in Loop: Header=BB20_19 Depth=2
	v_add_nc_u32_e32 v14, 1, v15
	s_mov_b32 s31, -1
	s_mov_b32 s27, -1
	s_mov_b32 s26, exec_lo
	s_delay_alu instid0(VALU_DEP_1) | instskip(NEXT) | instid1(VALU_DEP_1)
	v_and_b32_e32 v14, 63, v14
	v_lshl_add_u32 v18, v14, 2, v7
	ds_load_b32 v19, v18
	s_wait_dscnt 0x0
	v_cmpx_ne_u32_e64 v19, v12
	s_cbranch_execz .LBB20_16
; %bb.22:                               ;   in Loop: Header=BB20_19 Depth=2
	ds_cmpstore_rtn_b32 v18, v18, v12, v11
	s_mov_b32 s33, 0
	s_mov_b32 s27, exec_lo
	s_wait_dscnt 0x0
	v_cmpx_ne_u32_e32 -1, v18
	s_cbranch_execz .LBB20_15
; %bb.23:                               ;   in Loop: Header=BB20_19 Depth=2
	v_add_nc_u32_e32 v14, 2, v15
	s_mov_b32 s34, -1
	s_mov_b32 s33, -1
	s_mov_b32 s31, exec_lo
	s_delay_alu instid0(VALU_DEP_1) | instskip(NEXT) | instid1(VALU_DEP_1)
	v_and_b32_e32 v14, 63, v14
	v_lshl_add_u32 v18, v14, 2, v7
	ds_load_b32 v19, v18
	s_wait_dscnt 0x0
	v_cmpx_ne_u32_e64 v19, v12
	s_cbranch_execz .LBB20_14
; %bb.24:                               ;   in Loop: Header=BB20_19 Depth=2
	ds_cmpstore_rtn_b32 v18, v18, v12, v11
	s_mov_b32 s35, 0
	s_mov_b32 s33, exec_lo
	s_wait_dscnt 0x0
	v_cmpx_ne_u32_e32 -1, v18
	s_cbranch_execz .LBB20_13
; %bb.25:                               ;   in Loop: Header=BB20_19 Depth=2
	v_add_nc_u32_e32 v14, 3, v15
	s_mov_b32 s36, -1
	s_mov_b32 s35, -1
	s_delay_alu instid0(VALU_DEP_1) | instskip(NEXT) | instid1(VALU_DEP_1)
	v_and_b32_e32 v14, 63, v14
	v_lshl_add_u32 v18, v14, 2, v7
	ds_load_b32 v15, v18
	s_wait_dscnt 0x0
	v_cmp_ne_u32_e32 vcc_lo, v15, v12
                                        ; implicit-def: $vgpr15
	s_and_saveexec_b32 s34, vcc_lo
	s_cbranch_execz .LBB20_12
; %bb.26:                               ;   in Loop: Header=BB20_19 Depth=2
	ds_cmpstore_rtn_b32 v15, v18, v12, v11
	s_mov_b32 s35, 0
	s_wait_dscnt 0x0
	v_cmp_ne_u32_e32 vcc_lo, -1, v15
                                        ; implicit-def: $vgpr15
	s_and_saveexec_b32 s37, vcc_lo
	s_cbranch_execz .LBB20_11
; %bb.27:                               ;   in Loop: Header=BB20_19 Depth=2
	v_dual_add_nc_u32 v13, -4, v13 :: v_dual_add_nc_u32 v15, 1, v14
	s_mov_b32 s35, exec_lo
	s_delay_alu instid0(VALU_DEP_1)
	v_cmp_eq_u32_e32 vcc_lo, 0, v13
	s_or_not1_b32 s36, vcc_lo, exec_lo
	s_branch .LBB20_11
.LBB20_28:                              ;   in Loop: Header=BB20_10 Depth=1
	s_or_b32 exec_lo, exec_lo, s14
	s_xor_b32 s14, s15, -1
	s_delay_alu instid0(SALU_CYCLE_1) | instskip(NEXT) | instid1(SALU_CYCLE_1)
	s_and_saveexec_b32 s15, s14
	s_xor_b32 s14, exec_lo, s15
	s_cbranch_execz .LBB20_9
; %bb.29:                               ;   in Loop: Header=BB20_10 Depth=1
	v_lshl_add_u32 v12, v14, 2, v17
	ds_store_b32 v12, v10
	s_branch .LBB20_9
.LBB20_30:
	s_or_b32 exec_lo, exec_lo, s2
	s_delay_alu instid0(SALU_CYCLE_1)
	s_mov_b32 s2, exec_lo
	s_wait_loadcnt_dscnt 0x0
	v_cmpx_lt_i32_e64 v8, v6
	s_cbranch_execz .LBB20_60
; %bb.31:
	v_add_nc_u32_e32 v18, 1, v16
	s_mov_b32 s3, 0
	s_branch .LBB20_34
.LBB20_32:                              ;   in Loop: Header=BB20_34 Depth=1
	s_or_b32 exec_lo, exec_lo, s15
	v_add_nc_u32_e32 v8, 1, v8
	s_delay_alu instid0(VALU_DEP_1)
	v_cmp_ge_i32_e32 vcc_lo, v8, v6
	s_or_not1_b32 s15, vcc_lo, exec_lo
.LBB20_33:                              ;   in Loop: Header=BB20_34 Depth=1
	s_or_b32 exec_lo, exec_lo, s14
	s_delay_alu instid0(SALU_CYCLE_1) | instskip(NEXT) | instid1(SALU_CYCLE_1)
	s_and_b32 s14, exec_lo, s15
	s_or_b32 s3, s14, s3
	s_delay_alu instid0(SALU_CYCLE_1)
	s_and_not1_b32 exec_lo, exec_lo, s3
	s_cbranch_execz .LBB20_60
.LBB20_34:                              ; =>This Loop Header: Depth=1
                                        ;     Child Loop BB20_35 Depth 2
                                        ;     Child Loop BB20_40 Depth 2
                                        ;       Child Loop BB20_49 Depth 3
	s_clause 0x1
	global_load_b32 v9, v8, s[6:7] scale_offset
	global_load_b64 v[10:11], v8, s[8:9] scale_offset
	s_mov_b32 s14, 0
	s_wait_loadcnt 0x1
	v_subrev_nc_u32_e32 v12, s28, v9
	v_ashrrev_i32_e32 v9, 31, v8
	s_clause 0x1
	global_load_b32 v20, v12, s[4:5] offset:4 scale_offset
	global_load_b32 v19, v12, s[10:11] scale_offset
	v_ashrrev_i32_e32 v13, 31, v12
	v_lshl_add_u64 v[14:15], v[8:9], 3, s[8:9]
	s_wait_xcnt 0x0
	s_delay_alu instid0(VALU_DEP_2)
	v_lshl_add_u64 v[12:13], v[12:13], 2, s[12:13]
.LBB20_35:                              ;   Parent Loop BB20_34 Depth=1
                                        ; =>  This Inner Loop Header: Depth=2
	global_load_b32 v9, v[12:13], off scope:SCOPE_DEV
	s_wait_loadcnt 0x0
	v_cmp_ne_u32_e32 vcc_lo, 0, v9
	s_or_b32 s14, vcc_lo, s14
	s_wait_xcnt 0x0
	s_and_not1_b32 exec_lo, exec_lo, s14
	s_cbranch_execnz .LBB20_35
; %bb.36:                               ;   in Loop: Header=BB20_34 Depth=1
	s_or_b32 exec_lo, exec_lo, s14
	v_subrev_nc_u32_e32 v9, s28, v20
	v_cmp_eq_u32_e32 vcc_lo, -1, v19
	global_inv scope:SCOPE_DEV
	s_mov_b32 s15, -1
	s_mov_b32 s14, exec_lo
	v_add_nc_u32_e32 v12, -1, v9
	s_delay_alu instid0(VALU_DEP_1)
	v_cndmask_b32_e32 v19, v19, v12, vcc_lo
	global_load_b64 v[12:13], v19, s[8:9] scale_offset
	s_wait_loadcnt 0x0
	s_wait_xcnt 0x0
	v_cmpx_neq_f64_e32 0, v[12:13]
	s_cbranch_execz .LBB20_33
; %bb.37:                               ;   in Loop: Header=BB20_34 Depth=1
	v_div_scale_f64 v[20:21], null, v[12:13], v[12:13], v[10:11]
	s_mov_b32 s15, exec_lo
	v_rcp_f64_e32 v[22:23], v[20:21]
	v_nop
	s_delay_alu instid0(TRANS32_DEP_1) | instskip(NEXT) | instid1(VALU_DEP_1)
	v_fma_f64 v[24:25], -v[20:21], v[22:23], 1.0
	v_fmac_f64_e32 v[22:23], v[22:23], v[24:25]
	s_delay_alu instid0(VALU_DEP_1) | instskip(NEXT) | instid1(VALU_DEP_1)
	v_fma_f64 v[24:25], -v[20:21], v[22:23], 1.0
	v_fmac_f64_e32 v[22:23], v[22:23], v[24:25]
	v_div_scale_f64 v[24:25], vcc_lo, v[10:11], v[12:13], v[10:11]
	s_delay_alu instid0(VALU_DEP_1) | instskip(NEXT) | instid1(VALU_DEP_1)
	v_mul_f64_e32 v[26:27], v[24:25], v[22:23]
	v_fma_f64 v[20:21], -v[20:21], v[26:27], v[24:25]
	s_delay_alu instid0(VALU_DEP_1) | instskip(NEXT) | instid1(VALU_DEP_1)
	v_div_fmas_f64 v[20:21], v[20:21], v[22:23], v[26:27]
	v_div_fixup_f64 v[10:11], v[20:21], v[12:13], v[10:11]
	v_add_nc_u32_e32 v12, v18, v19
	global_store_b64 v[14:15], v[10:11], off
	s_wait_xcnt 0x0
	v_cmpx_lt_i32_e64 v12, v9
	s_cbranch_execz .LBB20_32
; %bb.38:                               ;   in Loop: Header=BB20_34 Depth=1
	s_mov_b32 s22, 0
	s_branch .LBB20_40
.LBB20_39:                              ;   in Loop: Header=BB20_40 Depth=2
	s_wait_xcnt 0x0
	s_or_b32 exec_lo, exec_lo, s23
	v_add_nc_u32_e32 v12, 64, v12
	s_delay_alu instid0(VALU_DEP_1) | instskip(SKIP_1) | instid1(SALU_CYCLE_1)
	v_cmp_ge_i32_e32 vcc_lo, v12, v9
	s_or_b32 s22, vcc_lo, s22
	s_and_not1_b32 exec_lo, exec_lo, s22
	s_cbranch_execz .LBB20_32
.LBB20_40:                              ;   Parent Loop BB20_34 Depth=1
                                        ; =>  This Loop Header: Depth=2
                                        ;       Child Loop BB20_49 Depth 3
	global_load_b32 v14, v12, s[6:7] scale_offset
	v_dual_ashrrev_i32 v13, 31, v12 :: v_dual_mov_b32 v15, 64
	s_mov_b32 s23, 0
                                        ; implicit-def: $sgpr24
                                        ; implicit-def: $sgpr25
                                        ; implicit-def: $sgpr26
	s_wait_loadcnt 0x0
	v_mul_lo_u32 v20, v14, 39
	s_branch .LBB20_49
.LBB20_41:                              ;   in Loop: Header=BB20_49 Depth=3
	s_or_b32 exec_lo, exec_lo, s40
	s_delay_alu instid0(SALU_CYCLE_1)
	s_or_not1_b32 s38, s38, exec_lo
	s_or_not1_b32 s39, s39, exec_lo
.LBB20_42:                              ;   in Loop: Header=BB20_49 Depth=3
	s_or_b32 exec_lo, exec_lo, s37
	s_delay_alu instid0(SALU_CYCLE_1)
	s_and_b32 s38, s38, exec_lo
	s_or_not1_b32 s37, s39, exec_lo
.LBB20_43:                              ;   in Loop: Header=BB20_49 Depth=3
	s_or_b32 exec_lo, exec_lo, s36
	s_delay_alu instid0(SALU_CYCLE_1)
	s_or_not1_b32 s36, s38, exec_lo
	s_or_not1_b32 s37, s37, exec_lo
.LBB20_44:                              ;   in Loop: Header=BB20_49 Depth=3
	s_or_b32 exec_lo, exec_lo, s35
	s_delay_alu instid0(SALU_CYCLE_1)
	s_and_b32 s36, s36, exec_lo
	s_or_not1_b32 s35, s37, exec_lo
.LBB20_45:                              ;   in Loop: Header=BB20_49 Depth=3
	s_or_b32 exec_lo, exec_lo, s34
	s_delay_alu instid0(SALU_CYCLE_1)
	s_or_not1_b32 s34, s36, exec_lo
	s_or_not1_b32 s35, s35, exec_lo
.LBB20_46:                              ;   in Loop: Header=BB20_49 Depth=3
	s_or_b32 exec_lo, exec_lo, s33
	s_delay_alu instid0(SALU_CYCLE_1)
	s_and_b32 s34, s34, exec_lo
	s_or_not1_b32 s33, s35, exec_lo
.LBB20_47:                              ;   in Loop: Header=BB20_49 Depth=3
	s_or_b32 exec_lo, exec_lo, s31
	s_delay_alu instid0(SALU_CYCLE_1)
	s_and_not1_b32 s26, s26, exec_lo
	s_and_b32 s31, s34, exec_lo
	s_and_not1_b32 s25, s25, exec_lo
	s_and_b32 s33, s33, exec_lo
	s_or_b32 s26, s26, s31
	s_or_b32 s25, s25, s33
.LBB20_48:                              ;   in Loop: Header=BB20_49 Depth=3
	s_or_b32 exec_lo, exec_lo, s27
	s_delay_alu instid0(SALU_CYCLE_1) | instskip(NEXT) | instid1(SALU_CYCLE_1)
	s_and_b32 s27, exec_lo, s25
	s_or_b32 s23, s27, s23
	s_and_not1_b32 s24, s24, exec_lo
	s_and_b32 s27, s26, exec_lo
	s_delay_alu instid0(SALU_CYCLE_1)
	s_or_b32 s24, s24, s27
	s_and_not1_b32 exec_lo, exec_lo, s23
	s_cbranch_execz .LBB20_58
.LBB20_49:                              ;   Parent Loop BB20_34 Depth=1
                                        ;     Parent Loop BB20_40 Depth=2
                                        ; =>    This Inner Loop Header: Depth=3
	s_delay_alu instid0(VALU_DEP_1) | instskip(SKIP_3) | instid1(VALU_DEP_1)
	v_and_b32_e32 v19, 63, v20
	s_or_b32 s26, s26, exec_lo
	s_or_b32 s25, s25, exec_lo
	s_mov_b32 s27, exec_lo
	v_lshl_add_u32 v21, v19, 2, v7
	ds_load_b32 v21, v21
	s_wait_dscnt 0x0
	s_wait_xcnt 0x0
	v_cmpx_ne_u32_e32 -1, v21
	s_cbranch_execz .LBB20_48
; %bb.50:                               ;   in Loop: Header=BB20_49 Depth=3
	s_mov_b32 s33, -1
	s_mov_b32 s34, 0
	s_mov_b32 s31, exec_lo
	v_cmpx_ne_u32_e64 v21, v14
	s_cbranch_execz .LBB20_47
; %bb.51:                               ;   in Loop: Header=BB20_49 Depth=3
	v_add_nc_u32_e32 v19, 1, v20
	s_mov_b32 s35, -1
	s_mov_b32 s34, -1
	s_mov_b32 s33, exec_lo
	s_delay_alu instid0(VALU_DEP_1) | instskip(NEXT) | instid1(VALU_DEP_1)
	v_and_b32_e32 v19, 63, v19
	v_lshl_add_u32 v21, v19, 2, v7
	ds_load_b32 v21, v21
	s_wait_dscnt 0x0
	v_cmpx_ne_u32_e32 -1, v21
	s_cbranch_execz .LBB20_46
; %bb.52:                               ;   in Loop: Header=BB20_49 Depth=3
	s_mov_b32 s36, 0
	s_mov_b32 s34, exec_lo
	v_cmpx_ne_u32_e64 v21, v14
	s_cbranch_execz .LBB20_45
; %bb.53:                               ;   in Loop: Header=BB20_49 Depth=3
	v_add_nc_u32_e32 v19, 2, v20
	s_mov_b32 s37, -1
	s_mov_b32 s36, -1
	s_mov_b32 s35, exec_lo
	s_delay_alu instid0(VALU_DEP_1) | instskip(NEXT) | instid1(VALU_DEP_1)
	v_and_b32_e32 v19, 63, v19
	v_lshl_add_u32 v21, v19, 2, v7
	ds_load_b32 v21, v21
	s_wait_dscnt 0x0
	v_cmpx_ne_u32_e32 -1, v21
	s_cbranch_execz .LBB20_44
; %bb.54:                               ;   in Loop: Header=BB20_49 Depth=3
	s_mov_b32 s38, 0
	s_mov_b32 s36, exec_lo
	v_cmpx_ne_u32_e64 v21, v14
	s_cbranch_execz .LBB20_43
; %bb.55:                               ;   in Loop: Header=BB20_49 Depth=3
	v_add_nc_u32_e32 v19, 3, v20
	s_mov_b32 s39, -1
	s_mov_b32 s38, -1
	s_mov_b32 s37, exec_lo
	s_delay_alu instid0(VALU_DEP_1) | instskip(NEXT) | instid1(VALU_DEP_1)
	v_and_b32_e32 v19, 63, v19
	v_lshl_add_u32 v20, v19, 2, v7
	ds_load_b32 v21, v20
                                        ; implicit-def: $vgpr20
	s_wait_dscnt 0x0
	v_cmpx_ne_u32_e32 -1, v21
	s_cbranch_execz .LBB20_42
; %bb.56:                               ;   in Loop: Header=BB20_49 Depth=3
	s_mov_b32 s38, 0
	s_mov_b32 s40, exec_lo
                                        ; implicit-def: $vgpr20
	v_cmpx_ne_u32_e64 v21, v14
	s_cbranch_execz .LBB20_41
; %bb.57:                               ;   in Loop: Header=BB20_49 Depth=3
	v_add_nc_u32_e32 v15, -4, v15
	v_add_nc_u32_e32 v20, 1, v19
	s_mov_b32 s38, exec_lo
	s_delay_alu instid0(VALU_DEP_2)
	v_cmp_eq_u32_e32 vcc_lo, 0, v15
	s_or_not1_b32 s39, vcc_lo, exec_lo
	s_branch .LBB20_41
.LBB20_58:                              ;   in Loop: Header=BB20_40 Depth=2
	s_or_b32 exec_lo, exec_lo, s23
	s_xor_b32 s23, s24, -1
	s_delay_alu instid0(SALU_CYCLE_1) | instskip(NEXT) | instid1(SALU_CYCLE_1)
	s_and_saveexec_b32 s24, s23
	s_xor_b32 s23, exec_lo, s24
	s_cbranch_execz .LBB20_39
; %bb.59:                               ;   in Loop: Header=BB20_40 Depth=2
	v_lshl_add_u32 v14, v19, 2, v17
	ds_load_b32 v19, v14
	v_lshl_add_u64 v[14:15], v[12:13], 3, s[8:9]
	global_load_b64 v[20:21], v[14:15], off
	s_wait_dscnt 0x0
	global_load_b64 v[22:23], v19, s[8:9] scale_offset
	s_wait_loadcnt 0x0
	s_wait_xcnt 0x1
	v_fma_f64 v[14:15], -v[10:11], v[20:21], v[22:23]
	global_store_b64 v19, v[14:15], s[8:9] scale_offset
	s_branch .LBB20_39
.LBB20_60:
	s_or_b32 exec_lo, exec_lo, s2
	s_mov_b32 s4, -1
	s_mov_b32 s3, exec_lo
	s_wait_storecnt 0x0
	v_cmpx_lt_i32_e32 -1, v6
	s_cbranch_execz .LBB20_76
; %bb.61:
	global_load_b64 v[8:9], v6, s[8:9] scale_offset
	v_cmp_eq_u32_e64 s2, 0, v16
	s_wait_loadcnt 0x0
	v_cmp_gt_f64_e32 vcc_lo, 0, v[8:9]
	v_xor_b32_e32 v7, 0x80000000, v9
	s_delay_alu instid0(VALU_DEP_1)
	v_dual_mov_b32 v10, v8 :: v_dual_cndmask_b32 v11, v9, v7
	s_and_not1_b32 vcc_lo, exec_lo, s29
	s_cbranch_vccnz .LBB20_65
; %bb.62:
	v_cvt_f64_f32_e32 v[12:13], s30
	s_cmp_eq_u64 s[20:21], 8
	s_cselect_b32 vcc_lo, -1, 0
	s_delay_alu instid0(VALU_DEP_1) | instskip(NEXT) | instid1(VALU_DEP_1)
	v_dual_cndmask_b32 v3, v13, v3 :: v_dual_cndmask_b32 v2, v12, v2
	v_cmp_le_f64_e32 vcc_lo, v[10:11], v[2:3]
	s_and_b32 s5, s2, vcc_lo
	s_delay_alu instid0(SALU_CYCLE_1)
	s_and_saveexec_b32 s4, s5
	s_cbranch_execz .LBB20_64
; %bb.63:
	v_mov_b32_e32 v7, 0
	s_delay_alu instid0(VALU_DEP_1)
	v_lshl_add_u64 v[2:3], v[6:7], 3, s[8:9]
	global_store_b64 v[2:3], v[4:5], off
	global_wb scope:SCOPE_DEV
	s_wait_storecnt 0x0
	global_inv scope:SCOPE_DEV
.LBB20_64:
	s_wait_xcnt 0x0
	s_or_b32 exec_lo, exec_lo, s4
	s_mov_b32 s4, 0
.LBB20_65:
	s_delay_alu instid0(SALU_CYCLE_1)
	s_and_not1_b32 vcc_lo, exec_lo, s4
	s_cbranch_vccnz .LBB20_76
; %bb.66:
	s_load_b64 s[0:1], s[0:1], 0x48
	v_add_nc_u32_e32 v2, s28, v0
	s_wait_kmcnt 0x0
	v_cmp_ge_f64_e32 vcc_lo, s[0:1], v[10:11]
	s_and_b32 s1, s2, vcc_lo
	s_delay_alu instid0(SALU_CYCLE_1)
	s_and_saveexec_b32 s0, s1
	s_cbranch_execz .LBB20_71
; %bb.67:
	s_mov_b32 s4, exec_lo
	s_brev_b32 s1, -2
.LBB20_68:                              ; =>This Inner Loop Header: Depth=1
	s_ctz_i32_b32 s5, s4
	s_delay_alu instid0(SALU_CYCLE_1) | instskip(SKIP_1) | instid1(SALU_CYCLE_1)
	v_readlane_b32 s6, v2, s5
	s_lshl_b32 s5, 1, s5
	s_and_not1_b32 s4, s4, s5
	s_min_i32 s1, s1, s6
	s_cmp_lg_u32 s4, 0
	s_cbranch_scc1 .LBB20_68
; %bb.69:
	v_mbcnt_lo_u32_b32 v3, exec_lo, 0
	s_mov_b32 s4, exec_lo
	s_delay_alu instid0(VALU_DEP_1)
	v_cmpx_eq_u32_e32 0, v3
	s_xor_b32 s4, exec_lo, s4
	s_cbranch_execz .LBB20_71
; %bb.70:
	v_dual_mov_b32 v3, 0 :: v_dual_mov_b32 v4, s1
	global_atomic_min_i32 v3, v4, s[18:19] scope:SCOPE_DEV
.LBB20_71:
	s_wait_xcnt 0x0
	s_or_b32 exec_lo, exec_lo, s0
	v_cmp_eq_f64_e32 vcc_lo, 0, v[8:9]
	s_and_b32 s0, s2, vcc_lo
	s_delay_alu instid0(SALU_CYCLE_1)
	s_and_b32 exec_lo, exec_lo, s0
	s_cbranch_execz .LBB20_76
; %bb.72:
	s_mov_b32 s1, exec_lo
	s_brev_b32 s0, -2
.LBB20_73:                              ; =>This Inner Loop Header: Depth=1
	s_ctz_i32_b32 s2, s1
	s_delay_alu instid0(SALU_CYCLE_1) | instskip(SKIP_1) | instid1(SALU_CYCLE_1)
	v_readlane_b32 s4, v2, s2
	s_lshl_b32 s2, 1, s2
	s_and_not1_b32 s1, s1, s2
	s_min_i32 s0, s0, s4
	s_cmp_lg_u32 s1, 0
	s_cbranch_scc1 .LBB20_73
; %bb.74:
	v_mbcnt_lo_u32_b32 v2, exec_lo, 0
	s_mov_b32 s1, exec_lo
	s_delay_alu instid0(VALU_DEP_1)
	v_cmpx_eq_u32_e32 0, v2
	s_xor_b32 s1, exec_lo, s1
	s_cbranch_execz .LBB20_76
; %bb.75:
	v_dual_mov_b32 v2, 0 :: v_dual_mov_b32 v3, s0
	global_atomic_min_i32 v2, v3, s[16:17] scope:SCOPE_DEV
.LBB20_76:
	s_wait_xcnt 0x0
	s_or_b32 exec_lo, exec_lo, s3
	v_cmp_eq_u32_e32 vcc_lo, 0, v16
	global_wb scope:SCOPE_DEV
	s_wait_loadcnt 0x0
	s_wait_storecnt 0x0
	global_inv scope:SCOPE_DEV
	s_and_b32 exec_lo, exec_lo, vcc_lo
	s_cbranch_execz .LBB20_78
; %bb.77:
	v_lshl_add_u64 v[0:1], v[0:1], 2, s[12:13]
	v_mov_b32_e32 v2, 1
	global_wb scope:SCOPE_DEV
	s_wait_loadcnt 0x0
	s_wait_storecnt 0x0
	global_store_b32 v[0:1], v2, off scope:SCOPE_DEV
.LBB20_78:
	s_endpgm
	.section	.rodata,"a",@progbits
	.p2align	6, 0x0
	.amdhsa_kernel _ZN9rocsparseL12csrilu0_hashILj256ELj64ELj1EdEEviPKiS2_PT2_S2_PiS2_S5_S5_d21rocsparse_index_base_imNS_24const_host_device_scalarIfEENS7_IdEENS7_IS3_EEb
		.amdhsa_group_segment_fixed_size 2048
		.amdhsa_private_segment_fixed_size 0
		.amdhsa_kernarg_size 124
		.amdhsa_user_sgpr_count 2
		.amdhsa_user_sgpr_dispatch_ptr 0
		.amdhsa_user_sgpr_queue_ptr 0
		.amdhsa_user_sgpr_kernarg_segment_ptr 1
		.amdhsa_user_sgpr_dispatch_id 0
		.amdhsa_user_sgpr_kernarg_preload_length 0
		.amdhsa_user_sgpr_kernarg_preload_offset 0
		.amdhsa_user_sgpr_private_segment_size 0
		.amdhsa_wavefront_size32 1
		.amdhsa_uses_dynamic_stack 0
		.amdhsa_enable_private_segment 0
		.amdhsa_system_sgpr_workgroup_id_x 1
		.amdhsa_system_sgpr_workgroup_id_y 0
		.amdhsa_system_sgpr_workgroup_id_z 0
		.amdhsa_system_sgpr_workgroup_info 0
		.amdhsa_system_vgpr_workitem_id 0
		.amdhsa_next_free_vgpr 28
		.amdhsa_next_free_sgpr 41
		.amdhsa_named_barrier_count 0
		.amdhsa_reserve_vcc 1
		.amdhsa_float_round_mode_32 0
		.amdhsa_float_round_mode_16_64 0
		.amdhsa_float_denorm_mode_32 3
		.amdhsa_float_denorm_mode_16_64 3
		.amdhsa_fp16_overflow 0
		.amdhsa_memory_ordered 1
		.amdhsa_forward_progress 1
		.amdhsa_inst_pref_size 22
		.amdhsa_round_robin_scheduling 0
		.amdhsa_exception_fp_ieee_invalid_op 0
		.amdhsa_exception_fp_denorm_src 0
		.amdhsa_exception_fp_ieee_div_zero 0
		.amdhsa_exception_fp_ieee_overflow 0
		.amdhsa_exception_fp_ieee_underflow 0
		.amdhsa_exception_fp_ieee_inexact 0
		.amdhsa_exception_int_div_zero 0
	.end_amdhsa_kernel
	.section	.text._ZN9rocsparseL12csrilu0_hashILj256ELj64ELj1EdEEviPKiS2_PT2_S2_PiS2_S5_S5_d21rocsparse_index_base_imNS_24const_host_device_scalarIfEENS7_IdEENS7_IS3_EEb,"axG",@progbits,_ZN9rocsparseL12csrilu0_hashILj256ELj64ELj1EdEEviPKiS2_PT2_S2_PiS2_S5_S5_d21rocsparse_index_base_imNS_24const_host_device_scalarIfEENS7_IdEENS7_IS3_EEb,comdat
.Lfunc_end20:
	.size	_ZN9rocsparseL12csrilu0_hashILj256ELj64ELj1EdEEviPKiS2_PT2_S2_PiS2_S5_S5_d21rocsparse_index_base_imNS_24const_host_device_scalarIfEENS7_IdEENS7_IS3_EEb, .Lfunc_end20-_ZN9rocsparseL12csrilu0_hashILj256ELj64ELj1EdEEviPKiS2_PT2_S2_PiS2_S5_S5_d21rocsparse_index_base_imNS_24const_host_device_scalarIfEENS7_IdEENS7_IS3_EEb
                                        ; -- End function
	.set _ZN9rocsparseL12csrilu0_hashILj256ELj64ELj1EdEEviPKiS2_PT2_S2_PiS2_S5_S5_d21rocsparse_index_base_imNS_24const_host_device_scalarIfEENS7_IdEENS7_IS3_EEb.num_vgpr, 28
	.set _ZN9rocsparseL12csrilu0_hashILj256ELj64ELj1EdEEviPKiS2_PT2_S2_PiS2_S5_S5_d21rocsparse_index_base_imNS_24const_host_device_scalarIfEENS7_IdEENS7_IS3_EEb.num_agpr, 0
	.set _ZN9rocsparseL12csrilu0_hashILj256ELj64ELj1EdEEviPKiS2_PT2_S2_PiS2_S5_S5_d21rocsparse_index_base_imNS_24const_host_device_scalarIfEENS7_IdEENS7_IS3_EEb.numbered_sgpr, 41
	.set _ZN9rocsparseL12csrilu0_hashILj256ELj64ELj1EdEEviPKiS2_PT2_S2_PiS2_S5_S5_d21rocsparse_index_base_imNS_24const_host_device_scalarIfEENS7_IdEENS7_IS3_EEb.num_named_barrier, 0
	.set _ZN9rocsparseL12csrilu0_hashILj256ELj64ELj1EdEEviPKiS2_PT2_S2_PiS2_S5_S5_d21rocsparse_index_base_imNS_24const_host_device_scalarIfEENS7_IdEENS7_IS3_EEb.private_seg_size, 0
	.set _ZN9rocsparseL12csrilu0_hashILj256ELj64ELj1EdEEviPKiS2_PT2_S2_PiS2_S5_S5_d21rocsparse_index_base_imNS_24const_host_device_scalarIfEENS7_IdEENS7_IS3_EEb.uses_vcc, 1
	.set _ZN9rocsparseL12csrilu0_hashILj256ELj64ELj1EdEEviPKiS2_PT2_S2_PiS2_S5_S5_d21rocsparse_index_base_imNS_24const_host_device_scalarIfEENS7_IdEENS7_IS3_EEb.uses_flat_scratch, 0
	.set _ZN9rocsparseL12csrilu0_hashILj256ELj64ELj1EdEEviPKiS2_PT2_S2_PiS2_S5_S5_d21rocsparse_index_base_imNS_24const_host_device_scalarIfEENS7_IdEENS7_IS3_EEb.has_dyn_sized_stack, 0
	.set _ZN9rocsparseL12csrilu0_hashILj256ELj64ELj1EdEEviPKiS2_PT2_S2_PiS2_S5_S5_d21rocsparse_index_base_imNS_24const_host_device_scalarIfEENS7_IdEENS7_IS3_EEb.has_recursion, 0
	.set _ZN9rocsparseL12csrilu0_hashILj256ELj64ELj1EdEEviPKiS2_PT2_S2_PiS2_S5_S5_d21rocsparse_index_base_imNS_24const_host_device_scalarIfEENS7_IdEENS7_IS3_EEb.has_indirect_call, 0
	.section	.AMDGPU.csdata,"",@progbits
; Kernel info:
; codeLenInByte = 2744
; TotalNumSgprs: 43
; NumVgprs: 28
; ScratchSize: 0
; MemoryBound: 0
; FloatMode: 240
; IeeeMode: 1
; LDSByteSize: 2048 bytes/workgroup (compile time only)
; SGPRBlocks: 0
; VGPRBlocks: 1
; NumSGPRsForWavesPerEU: 43
; NumVGPRsForWavesPerEU: 28
; NamedBarCnt: 0
; Occupancy: 16
; WaveLimiterHint : 1
; COMPUTE_PGM_RSRC2:SCRATCH_EN: 0
; COMPUTE_PGM_RSRC2:USER_SGPR: 2
; COMPUTE_PGM_RSRC2:TRAP_HANDLER: 0
; COMPUTE_PGM_RSRC2:TGID_X_EN: 1
; COMPUTE_PGM_RSRC2:TGID_Y_EN: 0
; COMPUTE_PGM_RSRC2:TGID_Z_EN: 0
; COMPUTE_PGM_RSRC2:TIDIG_COMP_CNT: 0
	.section	.text._ZN9rocsparseL12csrilu0_hashILj256ELj64ELj2EdEEviPKiS2_PT2_S2_PiS2_S5_S5_d21rocsparse_index_base_imNS_24const_host_device_scalarIfEENS7_IdEENS7_IS3_EEb,"axG",@progbits,_ZN9rocsparseL12csrilu0_hashILj256ELj64ELj2EdEEviPKiS2_PT2_S2_PiS2_S5_S5_d21rocsparse_index_base_imNS_24const_host_device_scalarIfEENS7_IdEENS7_IS3_EEb,comdat
	.globl	_ZN9rocsparseL12csrilu0_hashILj256ELj64ELj2EdEEviPKiS2_PT2_S2_PiS2_S5_S5_d21rocsparse_index_base_imNS_24const_host_device_scalarIfEENS7_IdEENS7_IS3_EEb ; -- Begin function _ZN9rocsparseL12csrilu0_hashILj256ELj64ELj2EdEEviPKiS2_PT2_S2_PiS2_S5_S5_d21rocsparse_index_base_imNS_24const_host_device_scalarIfEENS7_IdEENS7_IS3_EEb
	.p2align	8
	.type	_ZN9rocsparseL12csrilu0_hashILj256ELj64ELj2EdEEviPKiS2_PT2_S2_PiS2_S5_S5_d21rocsparse_index_base_imNS_24const_host_device_scalarIfEENS7_IdEENS7_IS3_EEb,@function
_ZN9rocsparseL12csrilu0_hashILj256ELj64ELj2EdEEviPKiS2_PT2_S2_PiS2_S5_S5_d21rocsparse_index_base_imNS_24const_host_device_scalarIfEENS7_IdEENS7_IS3_EEb: ; @_ZN9rocsparseL12csrilu0_hashILj256ELj64ELj2EdEEviPKiS2_PT2_S2_PiS2_S5_S5_d21rocsparse_index_base_imNS_24const_host_device_scalarIfEENS7_IdEENS7_IS3_EEb
; %bb.0:
	s_clause 0x2
	s_load_b32 s2, s[0:1], 0x78
	s_load_b64 s[28:29], s[0:1], 0x50
	s_load_b256 s[20:27], s[0:1], 0x58
	s_wait_kmcnt 0x0
	s_bitcmp1_b32 s2, 0
	s_cselect_b32 s2, -1, 0
	s_cmp_eq_u32 s29, 0
	s_cselect_b32 s4, -1, 0
	s_cmp_lg_u32 s29, 0
	s_cselect_b32 s29, -1, 0
	s_or_b32 s6, s4, s2
	s_delay_alu instid0(SALU_CYCLE_1)
	s_xor_b32 s5, s6, -1
	s_and_b32 s2, s4, exec_lo
	s_cselect_b32 s3, 0, s25
	s_cselect_b32 s2, 0, s24
	;; [unrolled: 1-line block ×3, first 2 shown]
	s_and_b32 vcc_lo, exec_lo, s6
	s_cbranch_vccnz .LBB21_2
; %bb.1:
	s_load_b32 s30, s[22:23], 0x0
	s_mov_b64 s[2:3], s[24:25]
.LBB21_2:
	s_delay_alu instid0(SALU_CYCLE_1)
	v_mov_b64_e32 v[2:3], s[2:3]
	v_cndmask_b32_e64 v1, 0, 1, s5
	s_and_not1_b32 vcc_lo, exec_lo, s5
	s_cbranch_vccnz .LBB21_4
; %bb.3:
	v_mov_b32_e32 v2, 0
	flat_load_b64 v[2:3], v2, s[24:25]
.LBB21_4:
	s_and_b32 s2, s4, exec_lo
	s_cselect_b32 s3, 0, s27
	s_cselect_b32 s2, 0, s26
	v_cmp_ne_u32_e32 vcc_lo, 1, v1
	v_mov_b64_e32 v[4:5], s[2:3]
	s_cbranch_vccnz .LBB21_6
; %bb.5:
	v_mov_b32_e32 v1, 0
	flat_load_b64 v[4:5], v1, s[26:27]
.LBB21_6:
	s_load_b32 s2, s[0:1], 0x0
	s_bfe_u32 s3, ttmp6, 0x4000c
	v_dual_lshlrev_b32 v1, 1, v0 :: v_dual_bitop2_b32 v16, 63, v0 bitop3:0x40
	s_add_co_i32 s3, s3, 1
	s_and_b32 s4, ttmp6, 15
	s_mul_i32 s3, ttmp9, s3
	s_getreg_b32 s5, hwreg(HW_REG_IB_STS2, 6, 4)
	s_add_co_i32 s4, s4, s3
	s_cmp_eq_u32 s5, 0
	v_and_b32_e32 v11, 0x180, v1
	v_dual_lshrrev_b32 v0, 6, v0 :: v_dual_mov_b32 v6, -1
	s_cselect_b32 s3, ttmp9, s4
	s_delay_alu instid0(SALU_CYCLE_1) | instskip(NEXT) | instid1(VALU_DEP_2)
	s_lshl_b32 s3, s3, 2
	v_lshl_or_b32 v7, v11, 2, 0x800
	s_delay_alu instid0(VALU_DEP_2) | instskip(NEXT) | instid1(VALU_DEP_2)
	v_and_or_b32 v0, 0x3fffffc, s3, v0
	v_lshl_or_b32 v1, v16, 2, v7
	s_wait_kmcnt 0x0
	s_delay_alu instid0(VALU_DEP_2)
	v_cmp_gt_i32_e32 vcc_lo, s2, v0
	ds_store_2addr_stride64_b32 v1, v6, v6 offset1:1
	s_wait_loadcnt_dscnt 0x0
	s_and_saveexec_b32 s2, vcc_lo
	s_cbranch_execz .LBB21_78
; %bb.7:
	s_load_b512 s[4:19], s[0:1], 0x8
	s_mov_b32 s2, exec_lo
	v_lshlrev_b32_e32 v17, 2, v11
	s_wait_kmcnt 0x0
	global_load_b32 v0, v0, s[14:15] scale_offset
	s_wait_loadcnt 0x0
	v_ashrrev_i32_e32 v1, 31, v0
	s_delay_alu instid0(VALU_DEP_1)
	v_lshl_add_u64 v[8:9], v[0:1], 2, s[4:5]
	global_load_b64 v[12:13], v[8:9], off
	global_load_b32 v6, v0, s[10:11] scale_offset
	s_wait_loadcnt 0x1
	s_wait_xcnt 0x1
	v_subrev_nc_u32_e32 v8, s28, v12
	v_subrev_nc_u32_e32 v9, s28, v13
	s_delay_alu instid0(VALU_DEP_2) | instskip(SKIP_1) | instid1(VALU_DEP_1)
	v_add_nc_u32_e32 v10, v8, v16
	s_wait_xcnt 0x0
	v_cmpx_lt_i32_e64 v10, v9
	s_cbranch_execz .LBB21_30
; %bb.8:
	v_mov_b32_e32 v11, -1
	s_mov_b32 s3, 0
	s_branch .LBB21_10
.LBB21_9:                               ;   in Loop: Header=BB21_10 Depth=1
	s_or_b32 exec_lo, exec_lo, s14
	v_add_nc_u32_e32 v10, 64, v10
	s_delay_alu instid0(VALU_DEP_1) | instskip(SKIP_1) | instid1(SALU_CYCLE_1)
	v_cmp_ge_i32_e32 vcc_lo, v10, v9
	s_or_b32 s3, vcc_lo, s3
	s_and_not1_b32 exec_lo, exec_lo, s3
	s_cbranch_execz .LBB21_30
.LBB21_10:                              ; =>This Loop Header: Depth=1
                                        ;     Child Loop BB21_19 Depth 2
	global_load_b32 v12, v10, s[6:7] scale_offset
	v_mov_b32_e32 v13, 0x80
	s_mov_b32 s14, 0
                                        ; implicit-def: $sgpr15
                                        ; implicit-def: $sgpr22
                                        ; implicit-def: $sgpr23
	s_wait_loadcnt 0x0
	v_mul_lo_u32 v15, 0x67, v12
	s_branch .LBB21_19
.LBB21_11:                              ;   in Loop: Header=BB21_19 Depth=2
	s_or_b32 exec_lo, exec_lo, s37
	s_delay_alu instid0(SALU_CYCLE_1)
	s_or_not1_b32 s35, s35, exec_lo
	s_or_not1_b32 s36, s36, exec_lo
.LBB21_12:                              ;   in Loop: Header=BB21_19 Depth=2
	s_or_b32 exec_lo, exec_lo, s34
	s_delay_alu instid0(SALU_CYCLE_1)
	s_and_b32 s35, s35, exec_lo
	s_or_not1_b32 s34, s36, exec_lo
.LBB21_13:                              ;   in Loop: Header=BB21_19 Depth=2
	s_or_b32 exec_lo, exec_lo, s33
	s_delay_alu instid0(SALU_CYCLE_1)
	s_or_not1_b32 s33, s35, exec_lo
	s_or_not1_b32 s34, s34, exec_lo
.LBB21_14:                              ;   in Loop: Header=BB21_19 Depth=2
	s_or_b32 exec_lo, exec_lo, s31
	s_delay_alu instid0(SALU_CYCLE_1)
	s_and_b32 s33, s33, exec_lo
	s_or_not1_b32 s31, s34, exec_lo
.LBB21_15:                              ;   in Loop: Header=BB21_19 Depth=2
	s_or_b32 exec_lo, exec_lo, s27
	s_delay_alu instid0(SALU_CYCLE_1)
	s_or_not1_b32 s27, s33, exec_lo
	s_or_not1_b32 s31, s31, exec_lo
.LBB21_16:                              ;   in Loop: Header=BB21_19 Depth=2
	s_or_b32 exec_lo, exec_lo, s26
	s_delay_alu instid0(SALU_CYCLE_1)
	s_and_b32 s27, s27, exec_lo
	s_or_not1_b32 s26, s31, exec_lo
.LBB21_17:                              ;   in Loop: Header=BB21_19 Depth=2
	s_or_b32 exec_lo, exec_lo, s25
	s_delay_alu instid0(SALU_CYCLE_1)
	s_and_not1_b32 s23, s23, exec_lo
	s_and_b32 s25, s27, exec_lo
	s_and_not1_b32 s22, s22, exec_lo
	s_and_b32 s26, s26, exec_lo
	s_or_b32 s23, s23, s25
	s_or_b32 s22, s22, s26
.LBB21_18:                              ;   in Loop: Header=BB21_19 Depth=2
	s_or_b32 exec_lo, exec_lo, s24
	s_delay_alu instid0(SALU_CYCLE_1) | instskip(NEXT) | instid1(SALU_CYCLE_1)
	s_and_b32 s24, exec_lo, s22
	s_or_b32 s14, s24, s14
	s_and_not1_b32 s15, s15, exec_lo
	s_and_b32 s24, s23, exec_lo
	s_delay_alu instid0(SALU_CYCLE_1)
	s_or_b32 s15, s15, s24
	s_and_not1_b32 exec_lo, exec_lo, s14
	s_cbranch_execz .LBB21_28
.LBB21_19:                              ;   Parent Loop BB21_10 Depth=1
                                        ; =>  This Inner Loop Header: Depth=2
	s_delay_alu instid0(VALU_DEP_1) | instskip(SKIP_3) | instid1(VALU_DEP_1)
	v_and_b32_e32 v14, 0x7f, v15
	s_or_b32 s23, s23, exec_lo
	s_or_b32 s22, s22, exec_lo
	s_mov_b32 s24, exec_lo
	v_lshl_add_u32 v18, v14, 2, v7
	ds_load_b32 v19, v18
	s_wait_dscnt 0x0
	s_wait_xcnt 0x0
	v_cmpx_ne_u32_e64 v19, v12
	s_cbranch_execz .LBB21_18
; %bb.20:                               ;   in Loop: Header=BB21_19 Depth=2
	ds_cmpstore_rtn_b32 v18, v18, v12, v11
	s_mov_b32 s26, -1
	s_mov_b32 s27, 0
	s_mov_b32 s25, exec_lo
	s_wait_dscnt 0x0
	v_cmpx_ne_u32_e32 -1, v18
	s_cbranch_execz .LBB21_17
; %bb.21:                               ;   in Loop: Header=BB21_19 Depth=2
	v_add_nc_u32_e32 v14, 1, v15
	s_mov_b32 s31, -1
	s_mov_b32 s27, -1
	s_mov_b32 s26, exec_lo
	s_delay_alu instid0(VALU_DEP_1) | instskip(NEXT) | instid1(VALU_DEP_1)
	v_and_b32_e32 v14, 0x7f, v14
	v_lshl_add_u32 v18, v14, 2, v7
	ds_load_b32 v19, v18
	s_wait_dscnt 0x0
	v_cmpx_ne_u32_e64 v19, v12
	s_cbranch_execz .LBB21_16
; %bb.22:                               ;   in Loop: Header=BB21_19 Depth=2
	ds_cmpstore_rtn_b32 v18, v18, v12, v11
	s_mov_b32 s33, 0
	s_mov_b32 s27, exec_lo
	s_wait_dscnt 0x0
	v_cmpx_ne_u32_e32 -1, v18
	s_cbranch_execz .LBB21_15
; %bb.23:                               ;   in Loop: Header=BB21_19 Depth=2
	v_add_nc_u32_e32 v14, 2, v15
	s_mov_b32 s34, -1
	s_mov_b32 s33, -1
	s_mov_b32 s31, exec_lo
	s_delay_alu instid0(VALU_DEP_1) | instskip(NEXT) | instid1(VALU_DEP_1)
	v_and_b32_e32 v14, 0x7f, v14
	v_lshl_add_u32 v18, v14, 2, v7
	ds_load_b32 v19, v18
	s_wait_dscnt 0x0
	v_cmpx_ne_u32_e64 v19, v12
	s_cbranch_execz .LBB21_14
; %bb.24:                               ;   in Loop: Header=BB21_19 Depth=2
	ds_cmpstore_rtn_b32 v18, v18, v12, v11
	s_mov_b32 s35, 0
	s_mov_b32 s33, exec_lo
	s_wait_dscnt 0x0
	v_cmpx_ne_u32_e32 -1, v18
	s_cbranch_execz .LBB21_13
; %bb.25:                               ;   in Loop: Header=BB21_19 Depth=2
	v_add_nc_u32_e32 v14, 3, v15
	s_mov_b32 s36, -1
	s_mov_b32 s35, -1
	s_delay_alu instid0(VALU_DEP_1) | instskip(NEXT) | instid1(VALU_DEP_1)
	v_and_b32_e32 v14, 0x7f, v14
	v_lshl_add_u32 v18, v14, 2, v7
	ds_load_b32 v15, v18
	s_wait_dscnt 0x0
	v_cmp_ne_u32_e32 vcc_lo, v15, v12
                                        ; implicit-def: $vgpr15
	s_and_saveexec_b32 s34, vcc_lo
	s_cbranch_execz .LBB21_12
; %bb.26:                               ;   in Loop: Header=BB21_19 Depth=2
	ds_cmpstore_rtn_b32 v15, v18, v12, v11
	s_mov_b32 s35, 0
	s_wait_dscnt 0x0
	v_cmp_ne_u32_e32 vcc_lo, -1, v15
                                        ; implicit-def: $vgpr15
	s_and_saveexec_b32 s37, vcc_lo
	s_cbranch_execz .LBB21_11
; %bb.27:                               ;   in Loop: Header=BB21_19 Depth=2
	v_dual_add_nc_u32 v13, -4, v13 :: v_dual_add_nc_u32 v15, 1, v14
	s_mov_b32 s35, exec_lo
	s_delay_alu instid0(VALU_DEP_1)
	v_cmp_eq_u32_e32 vcc_lo, 0, v13
	s_or_not1_b32 s36, vcc_lo, exec_lo
	s_branch .LBB21_11
.LBB21_28:                              ;   in Loop: Header=BB21_10 Depth=1
	s_or_b32 exec_lo, exec_lo, s14
	s_xor_b32 s14, s15, -1
	s_delay_alu instid0(SALU_CYCLE_1) | instskip(NEXT) | instid1(SALU_CYCLE_1)
	s_and_saveexec_b32 s15, s14
	s_xor_b32 s14, exec_lo, s15
	s_cbranch_execz .LBB21_9
; %bb.29:                               ;   in Loop: Header=BB21_10 Depth=1
	v_lshl_add_u32 v12, v14, 2, v17
	ds_store_b32 v12, v10
	s_branch .LBB21_9
.LBB21_30:
	s_or_b32 exec_lo, exec_lo, s2
	s_delay_alu instid0(SALU_CYCLE_1)
	s_mov_b32 s2, exec_lo
	s_wait_loadcnt_dscnt 0x0
	v_cmpx_lt_i32_e64 v8, v6
	s_cbranch_execz .LBB21_60
; %bb.31:
	v_add_nc_u32_e32 v18, 1, v16
	s_mov_b32 s3, 0
	s_branch .LBB21_34
.LBB21_32:                              ;   in Loop: Header=BB21_34 Depth=1
	s_or_b32 exec_lo, exec_lo, s15
	v_add_nc_u32_e32 v8, 1, v8
	s_delay_alu instid0(VALU_DEP_1)
	v_cmp_ge_i32_e32 vcc_lo, v8, v6
	s_or_not1_b32 s15, vcc_lo, exec_lo
.LBB21_33:                              ;   in Loop: Header=BB21_34 Depth=1
	s_or_b32 exec_lo, exec_lo, s14
	s_delay_alu instid0(SALU_CYCLE_1) | instskip(NEXT) | instid1(SALU_CYCLE_1)
	s_and_b32 s14, exec_lo, s15
	s_or_b32 s3, s14, s3
	s_delay_alu instid0(SALU_CYCLE_1)
	s_and_not1_b32 exec_lo, exec_lo, s3
	s_cbranch_execz .LBB21_60
.LBB21_34:                              ; =>This Loop Header: Depth=1
                                        ;     Child Loop BB21_35 Depth 2
                                        ;     Child Loop BB21_40 Depth 2
                                        ;       Child Loop BB21_49 Depth 3
	s_clause 0x1
	global_load_b32 v9, v8, s[6:7] scale_offset
	global_load_b64 v[10:11], v8, s[8:9] scale_offset
	s_mov_b32 s14, 0
	s_wait_loadcnt 0x1
	v_subrev_nc_u32_e32 v12, s28, v9
	v_ashrrev_i32_e32 v9, 31, v8
	s_clause 0x1
	global_load_b32 v20, v12, s[4:5] offset:4 scale_offset
	global_load_b32 v19, v12, s[10:11] scale_offset
	v_ashrrev_i32_e32 v13, 31, v12
	v_lshl_add_u64 v[14:15], v[8:9], 3, s[8:9]
	s_wait_xcnt 0x0
	s_delay_alu instid0(VALU_DEP_2)
	v_lshl_add_u64 v[12:13], v[12:13], 2, s[12:13]
.LBB21_35:                              ;   Parent Loop BB21_34 Depth=1
                                        ; =>  This Inner Loop Header: Depth=2
	global_load_b32 v9, v[12:13], off scope:SCOPE_DEV
	s_wait_loadcnt 0x0
	v_cmp_ne_u32_e32 vcc_lo, 0, v9
	s_or_b32 s14, vcc_lo, s14
	s_wait_xcnt 0x0
	s_and_not1_b32 exec_lo, exec_lo, s14
	s_cbranch_execnz .LBB21_35
; %bb.36:                               ;   in Loop: Header=BB21_34 Depth=1
	s_or_b32 exec_lo, exec_lo, s14
	v_subrev_nc_u32_e32 v9, s28, v20
	v_cmp_eq_u32_e32 vcc_lo, -1, v19
	global_inv scope:SCOPE_DEV
	s_mov_b32 s15, -1
	s_mov_b32 s14, exec_lo
	v_add_nc_u32_e32 v12, -1, v9
	s_delay_alu instid0(VALU_DEP_1)
	v_cndmask_b32_e32 v19, v19, v12, vcc_lo
	global_load_b64 v[12:13], v19, s[8:9] scale_offset
	s_wait_loadcnt 0x0
	s_wait_xcnt 0x0
	v_cmpx_neq_f64_e32 0, v[12:13]
	s_cbranch_execz .LBB21_33
; %bb.37:                               ;   in Loop: Header=BB21_34 Depth=1
	v_div_scale_f64 v[20:21], null, v[12:13], v[12:13], v[10:11]
	s_mov_b32 s15, exec_lo
	v_rcp_f64_e32 v[22:23], v[20:21]
	v_nop
	s_delay_alu instid0(TRANS32_DEP_1) | instskip(NEXT) | instid1(VALU_DEP_1)
	v_fma_f64 v[24:25], -v[20:21], v[22:23], 1.0
	v_fmac_f64_e32 v[22:23], v[22:23], v[24:25]
	s_delay_alu instid0(VALU_DEP_1) | instskip(NEXT) | instid1(VALU_DEP_1)
	v_fma_f64 v[24:25], -v[20:21], v[22:23], 1.0
	v_fmac_f64_e32 v[22:23], v[22:23], v[24:25]
	v_div_scale_f64 v[24:25], vcc_lo, v[10:11], v[12:13], v[10:11]
	s_delay_alu instid0(VALU_DEP_1) | instskip(NEXT) | instid1(VALU_DEP_1)
	v_mul_f64_e32 v[26:27], v[24:25], v[22:23]
	v_fma_f64 v[20:21], -v[20:21], v[26:27], v[24:25]
	s_delay_alu instid0(VALU_DEP_1) | instskip(NEXT) | instid1(VALU_DEP_1)
	v_div_fmas_f64 v[20:21], v[20:21], v[22:23], v[26:27]
	v_div_fixup_f64 v[10:11], v[20:21], v[12:13], v[10:11]
	v_add_nc_u32_e32 v12, v18, v19
	global_store_b64 v[14:15], v[10:11], off
	s_wait_xcnt 0x0
	v_cmpx_lt_i32_e64 v12, v9
	s_cbranch_execz .LBB21_32
; %bb.38:                               ;   in Loop: Header=BB21_34 Depth=1
	s_mov_b32 s22, 0
	s_branch .LBB21_40
.LBB21_39:                              ;   in Loop: Header=BB21_40 Depth=2
	s_wait_xcnt 0x0
	s_or_b32 exec_lo, exec_lo, s23
	v_add_nc_u32_e32 v12, 64, v12
	s_delay_alu instid0(VALU_DEP_1) | instskip(SKIP_1) | instid1(SALU_CYCLE_1)
	v_cmp_ge_i32_e32 vcc_lo, v12, v9
	s_or_b32 s22, vcc_lo, s22
	s_and_not1_b32 exec_lo, exec_lo, s22
	s_cbranch_execz .LBB21_32
.LBB21_40:                              ;   Parent Loop BB21_34 Depth=1
                                        ; =>  This Loop Header: Depth=2
                                        ;       Child Loop BB21_49 Depth 3
	global_load_b32 v14, v12, s[6:7] scale_offset
	v_ashrrev_i32_e32 v13, 31, v12
	v_mov_b32_e32 v15, 0x80
	s_mov_b32 s23, 0
                                        ; implicit-def: $sgpr24
                                        ; implicit-def: $sgpr25
                                        ; implicit-def: $sgpr26
	s_wait_loadcnt 0x0
	v_mul_lo_u32 v20, 0x67, v14
	s_branch .LBB21_49
.LBB21_41:                              ;   in Loop: Header=BB21_49 Depth=3
	s_or_b32 exec_lo, exec_lo, s40
	s_delay_alu instid0(SALU_CYCLE_1)
	s_or_not1_b32 s38, s38, exec_lo
	s_or_not1_b32 s39, s39, exec_lo
.LBB21_42:                              ;   in Loop: Header=BB21_49 Depth=3
	s_or_b32 exec_lo, exec_lo, s37
	s_delay_alu instid0(SALU_CYCLE_1)
	s_and_b32 s38, s38, exec_lo
	s_or_not1_b32 s37, s39, exec_lo
.LBB21_43:                              ;   in Loop: Header=BB21_49 Depth=3
	s_or_b32 exec_lo, exec_lo, s36
	s_delay_alu instid0(SALU_CYCLE_1)
	s_or_not1_b32 s36, s38, exec_lo
	s_or_not1_b32 s37, s37, exec_lo
.LBB21_44:                              ;   in Loop: Header=BB21_49 Depth=3
	s_or_b32 exec_lo, exec_lo, s35
	s_delay_alu instid0(SALU_CYCLE_1)
	s_and_b32 s36, s36, exec_lo
	s_or_not1_b32 s35, s37, exec_lo
.LBB21_45:                              ;   in Loop: Header=BB21_49 Depth=3
	s_or_b32 exec_lo, exec_lo, s34
	s_delay_alu instid0(SALU_CYCLE_1)
	s_or_not1_b32 s34, s36, exec_lo
	s_or_not1_b32 s35, s35, exec_lo
.LBB21_46:                              ;   in Loop: Header=BB21_49 Depth=3
	s_or_b32 exec_lo, exec_lo, s33
	s_delay_alu instid0(SALU_CYCLE_1)
	s_and_b32 s34, s34, exec_lo
	s_or_not1_b32 s33, s35, exec_lo
.LBB21_47:                              ;   in Loop: Header=BB21_49 Depth=3
	s_or_b32 exec_lo, exec_lo, s31
	s_delay_alu instid0(SALU_CYCLE_1)
	s_and_not1_b32 s26, s26, exec_lo
	s_and_b32 s31, s34, exec_lo
	s_and_not1_b32 s25, s25, exec_lo
	s_and_b32 s33, s33, exec_lo
	s_or_b32 s26, s26, s31
	s_or_b32 s25, s25, s33
.LBB21_48:                              ;   in Loop: Header=BB21_49 Depth=3
	s_or_b32 exec_lo, exec_lo, s27
	s_delay_alu instid0(SALU_CYCLE_1) | instskip(NEXT) | instid1(SALU_CYCLE_1)
	s_and_b32 s27, exec_lo, s25
	s_or_b32 s23, s27, s23
	s_and_not1_b32 s24, s24, exec_lo
	s_and_b32 s27, s26, exec_lo
	s_delay_alu instid0(SALU_CYCLE_1)
	s_or_b32 s24, s24, s27
	s_and_not1_b32 exec_lo, exec_lo, s23
	s_cbranch_execz .LBB21_58
.LBB21_49:                              ;   Parent Loop BB21_34 Depth=1
                                        ;     Parent Loop BB21_40 Depth=2
                                        ; =>    This Inner Loop Header: Depth=3
	s_delay_alu instid0(VALU_DEP_1) | instskip(SKIP_3) | instid1(VALU_DEP_1)
	v_and_b32_e32 v19, 0x7f, v20
	s_or_b32 s26, s26, exec_lo
	s_or_b32 s25, s25, exec_lo
	s_mov_b32 s27, exec_lo
	v_lshl_add_u32 v21, v19, 2, v7
	ds_load_b32 v21, v21
	s_wait_dscnt 0x0
	s_wait_xcnt 0x0
	v_cmpx_ne_u32_e32 -1, v21
	s_cbranch_execz .LBB21_48
; %bb.50:                               ;   in Loop: Header=BB21_49 Depth=3
	s_mov_b32 s33, -1
	s_mov_b32 s34, 0
	s_mov_b32 s31, exec_lo
	v_cmpx_ne_u32_e64 v21, v14
	s_cbranch_execz .LBB21_47
; %bb.51:                               ;   in Loop: Header=BB21_49 Depth=3
	v_add_nc_u32_e32 v19, 1, v20
	s_mov_b32 s35, -1
	s_mov_b32 s34, -1
	s_mov_b32 s33, exec_lo
	s_delay_alu instid0(VALU_DEP_1) | instskip(NEXT) | instid1(VALU_DEP_1)
	v_and_b32_e32 v19, 0x7f, v19
	v_lshl_add_u32 v21, v19, 2, v7
	ds_load_b32 v21, v21
	s_wait_dscnt 0x0
	v_cmpx_ne_u32_e32 -1, v21
	s_cbranch_execz .LBB21_46
; %bb.52:                               ;   in Loop: Header=BB21_49 Depth=3
	s_mov_b32 s36, 0
	s_mov_b32 s34, exec_lo
	v_cmpx_ne_u32_e64 v21, v14
	s_cbranch_execz .LBB21_45
; %bb.53:                               ;   in Loop: Header=BB21_49 Depth=3
	v_add_nc_u32_e32 v19, 2, v20
	s_mov_b32 s37, -1
	s_mov_b32 s36, -1
	s_mov_b32 s35, exec_lo
	s_delay_alu instid0(VALU_DEP_1) | instskip(NEXT) | instid1(VALU_DEP_1)
	v_and_b32_e32 v19, 0x7f, v19
	v_lshl_add_u32 v21, v19, 2, v7
	ds_load_b32 v21, v21
	s_wait_dscnt 0x0
	v_cmpx_ne_u32_e32 -1, v21
	s_cbranch_execz .LBB21_44
; %bb.54:                               ;   in Loop: Header=BB21_49 Depth=3
	s_mov_b32 s38, 0
	s_mov_b32 s36, exec_lo
	v_cmpx_ne_u32_e64 v21, v14
	s_cbranch_execz .LBB21_43
; %bb.55:                               ;   in Loop: Header=BB21_49 Depth=3
	v_add_nc_u32_e32 v19, 3, v20
	s_mov_b32 s39, -1
	s_mov_b32 s38, -1
	s_mov_b32 s37, exec_lo
	s_delay_alu instid0(VALU_DEP_1) | instskip(NEXT) | instid1(VALU_DEP_1)
	v_and_b32_e32 v19, 0x7f, v19
	v_lshl_add_u32 v20, v19, 2, v7
	ds_load_b32 v21, v20
                                        ; implicit-def: $vgpr20
	s_wait_dscnt 0x0
	v_cmpx_ne_u32_e32 -1, v21
	s_cbranch_execz .LBB21_42
; %bb.56:                               ;   in Loop: Header=BB21_49 Depth=3
	s_mov_b32 s38, 0
	s_mov_b32 s40, exec_lo
                                        ; implicit-def: $vgpr20
	v_cmpx_ne_u32_e64 v21, v14
	s_cbranch_execz .LBB21_41
; %bb.57:                               ;   in Loop: Header=BB21_49 Depth=3
	v_add_nc_u32_e32 v15, -4, v15
	v_add_nc_u32_e32 v20, 1, v19
	s_mov_b32 s38, exec_lo
	s_delay_alu instid0(VALU_DEP_2)
	v_cmp_eq_u32_e32 vcc_lo, 0, v15
	s_or_not1_b32 s39, vcc_lo, exec_lo
	s_branch .LBB21_41
.LBB21_58:                              ;   in Loop: Header=BB21_40 Depth=2
	s_or_b32 exec_lo, exec_lo, s23
	s_xor_b32 s23, s24, -1
	s_delay_alu instid0(SALU_CYCLE_1) | instskip(NEXT) | instid1(SALU_CYCLE_1)
	s_and_saveexec_b32 s24, s23
	s_xor_b32 s23, exec_lo, s24
	s_cbranch_execz .LBB21_39
; %bb.59:                               ;   in Loop: Header=BB21_40 Depth=2
	v_lshl_add_u32 v14, v19, 2, v17
	ds_load_b32 v19, v14
	v_lshl_add_u64 v[14:15], v[12:13], 3, s[8:9]
	global_load_b64 v[20:21], v[14:15], off
	s_wait_dscnt 0x0
	global_load_b64 v[22:23], v19, s[8:9] scale_offset
	s_wait_loadcnt 0x0
	s_wait_xcnt 0x1
	v_fma_f64 v[14:15], -v[10:11], v[20:21], v[22:23]
	global_store_b64 v19, v[14:15], s[8:9] scale_offset
	s_branch .LBB21_39
.LBB21_60:
	s_or_b32 exec_lo, exec_lo, s2
	s_mov_b32 s4, -1
	s_mov_b32 s3, exec_lo
	s_wait_storecnt 0x0
	v_cmpx_lt_i32_e32 -1, v6
	s_cbranch_execz .LBB21_76
; %bb.61:
	global_load_b64 v[8:9], v6, s[8:9] scale_offset
	v_cmp_eq_u32_e64 s2, 0, v16
	s_wait_loadcnt 0x0
	v_cmp_gt_f64_e32 vcc_lo, 0, v[8:9]
	v_xor_b32_e32 v7, 0x80000000, v9
	s_delay_alu instid0(VALU_DEP_1)
	v_dual_mov_b32 v10, v8 :: v_dual_cndmask_b32 v11, v9, v7
	s_and_not1_b32 vcc_lo, exec_lo, s29
	s_cbranch_vccnz .LBB21_65
; %bb.62:
	v_cvt_f64_f32_e32 v[12:13], s30
	s_cmp_eq_u64 s[20:21], 8
	s_cselect_b32 vcc_lo, -1, 0
	s_delay_alu instid0(VALU_DEP_1) | instskip(NEXT) | instid1(VALU_DEP_1)
	v_dual_cndmask_b32 v3, v13, v3 :: v_dual_cndmask_b32 v2, v12, v2
	v_cmp_le_f64_e32 vcc_lo, v[10:11], v[2:3]
	s_and_b32 s5, s2, vcc_lo
	s_delay_alu instid0(SALU_CYCLE_1)
	s_and_saveexec_b32 s4, s5
	s_cbranch_execz .LBB21_64
; %bb.63:
	v_mov_b32_e32 v7, 0
	s_delay_alu instid0(VALU_DEP_1)
	v_lshl_add_u64 v[2:3], v[6:7], 3, s[8:9]
	global_store_b64 v[2:3], v[4:5], off
	global_wb scope:SCOPE_DEV
	s_wait_storecnt 0x0
	global_inv scope:SCOPE_DEV
.LBB21_64:
	s_wait_xcnt 0x0
	s_or_b32 exec_lo, exec_lo, s4
	s_mov_b32 s4, 0
.LBB21_65:
	s_delay_alu instid0(SALU_CYCLE_1)
	s_and_not1_b32 vcc_lo, exec_lo, s4
	s_cbranch_vccnz .LBB21_76
; %bb.66:
	s_load_b64 s[0:1], s[0:1], 0x48
	v_add_nc_u32_e32 v2, s28, v0
	s_wait_kmcnt 0x0
	v_cmp_ge_f64_e32 vcc_lo, s[0:1], v[10:11]
	s_and_b32 s1, s2, vcc_lo
	s_delay_alu instid0(SALU_CYCLE_1)
	s_and_saveexec_b32 s0, s1
	s_cbranch_execz .LBB21_71
; %bb.67:
	s_mov_b32 s4, exec_lo
	s_brev_b32 s1, -2
.LBB21_68:                              ; =>This Inner Loop Header: Depth=1
	s_ctz_i32_b32 s5, s4
	s_delay_alu instid0(SALU_CYCLE_1) | instskip(SKIP_1) | instid1(SALU_CYCLE_1)
	v_readlane_b32 s6, v2, s5
	s_lshl_b32 s5, 1, s5
	s_and_not1_b32 s4, s4, s5
	s_min_i32 s1, s1, s6
	s_cmp_lg_u32 s4, 0
	s_cbranch_scc1 .LBB21_68
; %bb.69:
	v_mbcnt_lo_u32_b32 v3, exec_lo, 0
	s_mov_b32 s4, exec_lo
	s_delay_alu instid0(VALU_DEP_1)
	v_cmpx_eq_u32_e32 0, v3
	s_xor_b32 s4, exec_lo, s4
	s_cbranch_execz .LBB21_71
; %bb.70:
	v_dual_mov_b32 v3, 0 :: v_dual_mov_b32 v4, s1
	global_atomic_min_i32 v3, v4, s[18:19] scope:SCOPE_DEV
.LBB21_71:
	s_wait_xcnt 0x0
	s_or_b32 exec_lo, exec_lo, s0
	v_cmp_eq_f64_e32 vcc_lo, 0, v[8:9]
	s_and_b32 s0, s2, vcc_lo
	s_delay_alu instid0(SALU_CYCLE_1)
	s_and_b32 exec_lo, exec_lo, s0
	s_cbranch_execz .LBB21_76
; %bb.72:
	s_mov_b32 s1, exec_lo
	s_brev_b32 s0, -2
.LBB21_73:                              ; =>This Inner Loop Header: Depth=1
	s_ctz_i32_b32 s2, s1
	s_delay_alu instid0(SALU_CYCLE_1) | instskip(SKIP_1) | instid1(SALU_CYCLE_1)
	v_readlane_b32 s4, v2, s2
	s_lshl_b32 s2, 1, s2
	s_and_not1_b32 s1, s1, s2
	s_min_i32 s0, s0, s4
	s_cmp_lg_u32 s1, 0
	s_cbranch_scc1 .LBB21_73
; %bb.74:
	v_mbcnt_lo_u32_b32 v2, exec_lo, 0
	s_mov_b32 s1, exec_lo
	s_delay_alu instid0(VALU_DEP_1)
	v_cmpx_eq_u32_e32 0, v2
	s_xor_b32 s1, exec_lo, s1
	s_cbranch_execz .LBB21_76
; %bb.75:
	v_dual_mov_b32 v2, 0 :: v_dual_mov_b32 v3, s0
	global_atomic_min_i32 v2, v3, s[16:17] scope:SCOPE_DEV
.LBB21_76:
	s_wait_xcnt 0x0
	s_or_b32 exec_lo, exec_lo, s3
	v_cmp_eq_u32_e32 vcc_lo, 0, v16
	global_wb scope:SCOPE_DEV
	s_wait_loadcnt 0x0
	s_wait_storecnt 0x0
	global_inv scope:SCOPE_DEV
	s_and_b32 exec_lo, exec_lo, vcc_lo
	s_cbranch_execz .LBB21_78
; %bb.77:
	v_lshl_add_u64 v[0:1], v[0:1], 2, s[12:13]
	v_mov_b32_e32 v2, 1
	global_wb scope:SCOPE_DEV
	s_wait_loadcnt 0x0
	s_wait_storecnt 0x0
	global_store_b32 v[0:1], v2, off scope:SCOPE_DEV
.LBB21_78:
	s_endpgm
	.section	.rodata,"a",@progbits
	.p2align	6, 0x0
	.amdhsa_kernel _ZN9rocsparseL12csrilu0_hashILj256ELj64ELj2EdEEviPKiS2_PT2_S2_PiS2_S5_S5_d21rocsparse_index_base_imNS_24const_host_device_scalarIfEENS7_IdEENS7_IS3_EEb
		.amdhsa_group_segment_fixed_size 4096
		.amdhsa_private_segment_fixed_size 0
		.amdhsa_kernarg_size 124
		.amdhsa_user_sgpr_count 2
		.amdhsa_user_sgpr_dispatch_ptr 0
		.amdhsa_user_sgpr_queue_ptr 0
		.amdhsa_user_sgpr_kernarg_segment_ptr 1
		.amdhsa_user_sgpr_dispatch_id 0
		.amdhsa_user_sgpr_kernarg_preload_length 0
		.amdhsa_user_sgpr_kernarg_preload_offset 0
		.amdhsa_user_sgpr_private_segment_size 0
		.amdhsa_wavefront_size32 1
		.amdhsa_uses_dynamic_stack 0
		.amdhsa_enable_private_segment 0
		.amdhsa_system_sgpr_workgroup_id_x 1
		.amdhsa_system_sgpr_workgroup_id_y 0
		.amdhsa_system_sgpr_workgroup_id_z 0
		.amdhsa_system_sgpr_workgroup_info 0
		.amdhsa_system_vgpr_workitem_id 0
		.amdhsa_next_free_vgpr 28
		.amdhsa_next_free_sgpr 41
		.amdhsa_named_barrier_count 0
		.amdhsa_reserve_vcc 1
		.amdhsa_float_round_mode_32 0
		.amdhsa_float_round_mode_16_64 0
		.amdhsa_float_denorm_mode_32 3
		.amdhsa_float_denorm_mode_16_64 3
		.amdhsa_fp16_overflow 0
		.amdhsa_memory_ordered 1
		.amdhsa_forward_progress 1
		.amdhsa_inst_pref_size 22
		.amdhsa_round_robin_scheduling 0
		.amdhsa_exception_fp_ieee_invalid_op 0
		.amdhsa_exception_fp_denorm_src 0
		.amdhsa_exception_fp_ieee_div_zero 0
		.amdhsa_exception_fp_ieee_overflow 0
		.amdhsa_exception_fp_ieee_underflow 0
		.amdhsa_exception_fp_ieee_inexact 0
		.amdhsa_exception_int_div_zero 0
	.end_amdhsa_kernel
	.section	.text._ZN9rocsparseL12csrilu0_hashILj256ELj64ELj2EdEEviPKiS2_PT2_S2_PiS2_S5_S5_d21rocsparse_index_base_imNS_24const_host_device_scalarIfEENS7_IdEENS7_IS3_EEb,"axG",@progbits,_ZN9rocsparseL12csrilu0_hashILj256ELj64ELj2EdEEviPKiS2_PT2_S2_PiS2_S5_S5_d21rocsparse_index_base_imNS_24const_host_device_scalarIfEENS7_IdEENS7_IS3_EEb,comdat
.Lfunc_end21:
	.size	_ZN9rocsparseL12csrilu0_hashILj256ELj64ELj2EdEEviPKiS2_PT2_S2_PiS2_S5_S5_d21rocsparse_index_base_imNS_24const_host_device_scalarIfEENS7_IdEENS7_IS3_EEb, .Lfunc_end21-_ZN9rocsparseL12csrilu0_hashILj256ELj64ELj2EdEEviPKiS2_PT2_S2_PiS2_S5_S5_d21rocsparse_index_base_imNS_24const_host_device_scalarIfEENS7_IdEENS7_IS3_EEb
                                        ; -- End function
	.set _ZN9rocsparseL12csrilu0_hashILj256ELj64ELj2EdEEviPKiS2_PT2_S2_PiS2_S5_S5_d21rocsparse_index_base_imNS_24const_host_device_scalarIfEENS7_IdEENS7_IS3_EEb.num_vgpr, 28
	.set _ZN9rocsparseL12csrilu0_hashILj256ELj64ELj2EdEEviPKiS2_PT2_S2_PiS2_S5_S5_d21rocsparse_index_base_imNS_24const_host_device_scalarIfEENS7_IdEENS7_IS3_EEb.num_agpr, 0
	.set _ZN9rocsparseL12csrilu0_hashILj256ELj64ELj2EdEEviPKiS2_PT2_S2_PiS2_S5_S5_d21rocsparse_index_base_imNS_24const_host_device_scalarIfEENS7_IdEENS7_IS3_EEb.numbered_sgpr, 41
	.set _ZN9rocsparseL12csrilu0_hashILj256ELj64ELj2EdEEviPKiS2_PT2_S2_PiS2_S5_S5_d21rocsparse_index_base_imNS_24const_host_device_scalarIfEENS7_IdEENS7_IS3_EEb.num_named_barrier, 0
	.set _ZN9rocsparseL12csrilu0_hashILj256ELj64ELj2EdEEviPKiS2_PT2_S2_PiS2_S5_S5_d21rocsparse_index_base_imNS_24const_host_device_scalarIfEENS7_IdEENS7_IS3_EEb.private_seg_size, 0
	.set _ZN9rocsparseL12csrilu0_hashILj256ELj64ELj2EdEEviPKiS2_PT2_S2_PiS2_S5_S5_d21rocsparse_index_base_imNS_24const_host_device_scalarIfEENS7_IdEENS7_IS3_EEb.uses_vcc, 1
	.set _ZN9rocsparseL12csrilu0_hashILj256ELj64ELj2EdEEviPKiS2_PT2_S2_PiS2_S5_S5_d21rocsparse_index_base_imNS_24const_host_device_scalarIfEENS7_IdEENS7_IS3_EEb.uses_flat_scratch, 0
	.set _ZN9rocsparseL12csrilu0_hashILj256ELj64ELj2EdEEviPKiS2_PT2_S2_PiS2_S5_S5_d21rocsparse_index_base_imNS_24const_host_device_scalarIfEENS7_IdEENS7_IS3_EEb.has_dyn_sized_stack, 0
	.set _ZN9rocsparseL12csrilu0_hashILj256ELj64ELj2EdEEviPKiS2_PT2_S2_PiS2_S5_S5_d21rocsparse_index_base_imNS_24const_host_device_scalarIfEENS7_IdEENS7_IS3_EEb.has_recursion, 0
	.set _ZN9rocsparseL12csrilu0_hashILj256ELj64ELj2EdEEviPKiS2_PT2_S2_PiS2_S5_S5_d21rocsparse_index_base_imNS_24const_host_device_scalarIfEENS7_IdEENS7_IS3_EEb.has_indirect_call, 0
	.section	.AMDGPU.csdata,"",@progbits
; Kernel info:
; codeLenInByte = 2808
; TotalNumSgprs: 43
; NumVgprs: 28
; ScratchSize: 0
; MemoryBound: 0
; FloatMode: 240
; IeeeMode: 1
; LDSByteSize: 4096 bytes/workgroup (compile time only)
; SGPRBlocks: 0
; VGPRBlocks: 1
; NumSGPRsForWavesPerEU: 43
; NumVGPRsForWavesPerEU: 28
; NamedBarCnt: 0
; Occupancy: 16
; WaveLimiterHint : 1
; COMPUTE_PGM_RSRC2:SCRATCH_EN: 0
; COMPUTE_PGM_RSRC2:USER_SGPR: 2
; COMPUTE_PGM_RSRC2:TRAP_HANDLER: 0
; COMPUTE_PGM_RSRC2:TGID_X_EN: 1
; COMPUTE_PGM_RSRC2:TGID_Y_EN: 0
; COMPUTE_PGM_RSRC2:TGID_Z_EN: 0
; COMPUTE_PGM_RSRC2:TIDIG_COMP_CNT: 0
	.section	.text._ZN9rocsparseL12csrilu0_hashILj256ELj64ELj4EdEEviPKiS2_PT2_S2_PiS2_S5_S5_d21rocsparse_index_base_imNS_24const_host_device_scalarIfEENS7_IdEENS7_IS3_EEb,"axG",@progbits,_ZN9rocsparseL12csrilu0_hashILj256ELj64ELj4EdEEviPKiS2_PT2_S2_PiS2_S5_S5_d21rocsparse_index_base_imNS_24const_host_device_scalarIfEENS7_IdEENS7_IS3_EEb,comdat
	.globl	_ZN9rocsparseL12csrilu0_hashILj256ELj64ELj4EdEEviPKiS2_PT2_S2_PiS2_S5_S5_d21rocsparse_index_base_imNS_24const_host_device_scalarIfEENS7_IdEENS7_IS3_EEb ; -- Begin function _ZN9rocsparseL12csrilu0_hashILj256ELj64ELj4EdEEviPKiS2_PT2_S2_PiS2_S5_S5_d21rocsparse_index_base_imNS_24const_host_device_scalarIfEENS7_IdEENS7_IS3_EEb
	.p2align	8
	.type	_ZN9rocsparseL12csrilu0_hashILj256ELj64ELj4EdEEviPKiS2_PT2_S2_PiS2_S5_S5_d21rocsparse_index_base_imNS_24const_host_device_scalarIfEENS7_IdEENS7_IS3_EEb,@function
_ZN9rocsparseL12csrilu0_hashILj256ELj64ELj4EdEEviPKiS2_PT2_S2_PiS2_S5_S5_d21rocsparse_index_base_imNS_24const_host_device_scalarIfEENS7_IdEENS7_IS3_EEb: ; @_ZN9rocsparseL12csrilu0_hashILj256ELj64ELj4EdEEviPKiS2_PT2_S2_PiS2_S5_S5_d21rocsparse_index_base_imNS_24const_host_device_scalarIfEENS7_IdEENS7_IS3_EEb
; %bb.0:
	s_clause 0x2
	s_load_b32 s2, s[0:1], 0x78
	s_load_b64 s[28:29], s[0:1], 0x50
	s_load_b256 s[20:27], s[0:1], 0x58
	s_wait_kmcnt 0x0
	s_bitcmp1_b32 s2, 0
	s_cselect_b32 s2, -1, 0
	s_cmp_eq_u32 s29, 0
	s_cselect_b32 s4, -1, 0
	s_cmp_lg_u32 s29, 0
	s_cselect_b32 s29, -1, 0
	s_or_b32 s6, s4, s2
	s_delay_alu instid0(SALU_CYCLE_1)
	s_xor_b32 s5, s6, -1
	s_and_b32 s2, s4, exec_lo
	s_cselect_b32 s3, 0, s25
	s_cselect_b32 s2, 0, s24
	;; [unrolled: 1-line block ×3, first 2 shown]
	s_and_b32 vcc_lo, exec_lo, s6
	s_cbranch_vccnz .LBB22_2
; %bb.1:
	s_load_b32 s30, s[22:23], 0x0
	s_mov_b64 s[2:3], s[24:25]
.LBB22_2:
	s_delay_alu instid0(SALU_CYCLE_1)
	v_mov_b64_e32 v[2:3], s[2:3]
	v_cndmask_b32_e64 v1, 0, 1, s5
	s_and_not1_b32 vcc_lo, exec_lo, s5
	s_cbranch_vccnz .LBB22_4
; %bb.3:
	v_mov_b32_e32 v2, 0
	flat_load_b64 v[2:3], v2, s[24:25]
.LBB22_4:
	s_and_b32 s2, s4, exec_lo
	s_cselect_b32 s3, 0, s27
	s_cselect_b32 s2, 0, s26
	v_cmp_ne_u32_e32 vcc_lo, 1, v1
	v_mov_b64_e32 v[4:5], s[2:3]
	s_cbranch_vccnz .LBB22_6
; %bb.5:
	v_mov_b32_e32 v1, 0
	flat_load_b64 v[4:5], v1, s[26:27]
.LBB22_6:
	s_load_b32 s2, s[0:1], 0x0
	s_bfe_u32 s3, ttmp6, 0x4000c
	v_dual_lshlrev_b32 v1, 2, v0 :: v_dual_bitop2_b32 v16, 63, v0 bitop3:0x40
	s_add_co_i32 s3, s3, 1
	s_and_b32 s4, ttmp6, 15
	s_mul_i32 s3, ttmp9, s3
	s_getreg_b32 s5, hwreg(HW_REG_IB_STS2, 6, 4)
	s_add_co_i32 s4, s4, s3
	s_cmp_eq_u32 s5, 0
	v_and_b32_e32 v11, 0x300, v1
	v_dual_lshrrev_b32 v0, 6, v0 :: v_dual_mov_b32 v6, -1
	s_cselect_b32 s3, ttmp9, s4
	s_delay_alu instid0(SALU_CYCLE_1) | instskip(NEXT) | instid1(VALU_DEP_2)
	s_lshl_b32 s3, s3, 2
	v_lshl_or_b32 v7, v11, 2, 0x1000
	s_delay_alu instid0(VALU_DEP_2) | instskip(NEXT) | instid1(VALU_DEP_2)
	v_and_or_b32 v0, 0x3fffffc, s3, v0
	v_lshl_or_b32 v1, v16, 2, v7
	s_wait_kmcnt 0x0
	s_delay_alu instid0(VALU_DEP_2)
	v_cmp_gt_i32_e32 vcc_lo, s2, v0
	ds_store_2addr_stride64_b32 v1, v6, v6 offset1:1
	ds_store_2addr_stride64_b32 v1, v6, v6 offset0:2 offset1:3
	s_wait_loadcnt_dscnt 0x0
	s_and_saveexec_b32 s2, vcc_lo
	s_cbranch_execz .LBB22_78
; %bb.7:
	s_load_b512 s[4:19], s[0:1], 0x8
	s_mov_b32 s2, exec_lo
	v_lshlrev_b32_e32 v17, 2, v11
	s_wait_kmcnt 0x0
	global_load_b32 v0, v0, s[14:15] scale_offset
	s_wait_loadcnt 0x0
	v_ashrrev_i32_e32 v1, 31, v0
	s_delay_alu instid0(VALU_DEP_1)
	v_lshl_add_u64 v[8:9], v[0:1], 2, s[4:5]
	global_load_b64 v[12:13], v[8:9], off
	global_load_b32 v6, v0, s[10:11] scale_offset
	s_wait_loadcnt 0x1
	s_wait_xcnt 0x1
	v_subrev_nc_u32_e32 v8, s28, v12
	v_subrev_nc_u32_e32 v9, s28, v13
	s_delay_alu instid0(VALU_DEP_2) | instskip(SKIP_1) | instid1(VALU_DEP_1)
	v_add_nc_u32_e32 v10, v8, v16
	s_wait_xcnt 0x0
	v_cmpx_lt_i32_e64 v10, v9
	s_cbranch_execz .LBB22_30
; %bb.8:
	v_mov_b32_e32 v11, -1
	s_mov_b32 s3, 0
	s_branch .LBB22_10
.LBB22_9:                               ;   in Loop: Header=BB22_10 Depth=1
	s_or_b32 exec_lo, exec_lo, s14
	v_add_nc_u32_e32 v10, 64, v10
	s_delay_alu instid0(VALU_DEP_1) | instskip(SKIP_1) | instid1(SALU_CYCLE_1)
	v_cmp_ge_i32_e32 vcc_lo, v10, v9
	s_or_b32 s3, vcc_lo, s3
	s_and_not1_b32 exec_lo, exec_lo, s3
	s_cbranch_execz .LBB22_30
.LBB22_10:                              ; =>This Loop Header: Depth=1
                                        ;     Child Loop BB22_19 Depth 2
	global_load_b32 v12, v10, s[6:7] scale_offset
	v_mov_b32_e32 v13, 0x100
	s_mov_b32 s14, 0
                                        ; implicit-def: $sgpr15
                                        ; implicit-def: $sgpr22
                                        ; implicit-def: $sgpr23
	s_wait_loadcnt 0x0
	v_mul_lo_u32 v15, 0x67, v12
	s_branch .LBB22_19
.LBB22_11:                              ;   in Loop: Header=BB22_19 Depth=2
	s_or_b32 exec_lo, exec_lo, s37
	s_delay_alu instid0(SALU_CYCLE_1)
	s_or_not1_b32 s35, s35, exec_lo
	s_or_not1_b32 s36, s36, exec_lo
.LBB22_12:                              ;   in Loop: Header=BB22_19 Depth=2
	s_or_b32 exec_lo, exec_lo, s34
	s_delay_alu instid0(SALU_CYCLE_1)
	s_and_b32 s35, s35, exec_lo
	s_or_not1_b32 s34, s36, exec_lo
.LBB22_13:                              ;   in Loop: Header=BB22_19 Depth=2
	s_or_b32 exec_lo, exec_lo, s33
	s_delay_alu instid0(SALU_CYCLE_1)
	s_or_not1_b32 s33, s35, exec_lo
	s_or_not1_b32 s34, s34, exec_lo
.LBB22_14:                              ;   in Loop: Header=BB22_19 Depth=2
	s_or_b32 exec_lo, exec_lo, s31
	s_delay_alu instid0(SALU_CYCLE_1)
	s_and_b32 s33, s33, exec_lo
	s_or_not1_b32 s31, s34, exec_lo
.LBB22_15:                              ;   in Loop: Header=BB22_19 Depth=2
	s_or_b32 exec_lo, exec_lo, s27
	s_delay_alu instid0(SALU_CYCLE_1)
	s_or_not1_b32 s27, s33, exec_lo
	s_or_not1_b32 s31, s31, exec_lo
.LBB22_16:                              ;   in Loop: Header=BB22_19 Depth=2
	s_or_b32 exec_lo, exec_lo, s26
	s_delay_alu instid0(SALU_CYCLE_1)
	s_and_b32 s27, s27, exec_lo
	s_or_not1_b32 s26, s31, exec_lo
.LBB22_17:                              ;   in Loop: Header=BB22_19 Depth=2
	s_or_b32 exec_lo, exec_lo, s25
	s_delay_alu instid0(SALU_CYCLE_1)
	s_and_not1_b32 s23, s23, exec_lo
	s_and_b32 s25, s27, exec_lo
	s_and_not1_b32 s22, s22, exec_lo
	s_and_b32 s26, s26, exec_lo
	s_or_b32 s23, s23, s25
	s_or_b32 s22, s22, s26
.LBB22_18:                              ;   in Loop: Header=BB22_19 Depth=2
	s_or_b32 exec_lo, exec_lo, s24
	s_delay_alu instid0(SALU_CYCLE_1) | instskip(NEXT) | instid1(SALU_CYCLE_1)
	s_and_b32 s24, exec_lo, s22
	s_or_b32 s14, s24, s14
	s_and_not1_b32 s15, s15, exec_lo
	s_and_b32 s24, s23, exec_lo
	s_delay_alu instid0(SALU_CYCLE_1)
	s_or_b32 s15, s15, s24
	s_and_not1_b32 exec_lo, exec_lo, s14
	s_cbranch_execz .LBB22_28
.LBB22_19:                              ;   Parent Loop BB22_10 Depth=1
                                        ; =>  This Inner Loop Header: Depth=2
	s_delay_alu instid0(VALU_DEP_1) | instskip(SKIP_3) | instid1(VALU_DEP_1)
	v_and_b32_e32 v14, 0xff, v15
	s_or_b32 s23, s23, exec_lo
	s_or_b32 s22, s22, exec_lo
	s_mov_b32 s24, exec_lo
	v_lshl_add_u32 v18, v14, 2, v7
	ds_load_b32 v19, v18
	s_wait_dscnt 0x0
	s_wait_xcnt 0x0
	v_cmpx_ne_u32_e64 v19, v12
	s_cbranch_execz .LBB22_18
; %bb.20:                               ;   in Loop: Header=BB22_19 Depth=2
	ds_cmpstore_rtn_b32 v18, v18, v12, v11
	s_mov_b32 s26, -1
	s_mov_b32 s27, 0
	s_mov_b32 s25, exec_lo
	s_wait_dscnt 0x0
	v_cmpx_ne_u32_e32 -1, v18
	s_cbranch_execz .LBB22_17
; %bb.21:                               ;   in Loop: Header=BB22_19 Depth=2
	v_add_nc_u32_e32 v14, 1, v15
	s_mov_b32 s31, -1
	s_mov_b32 s27, -1
	s_mov_b32 s26, exec_lo
	s_delay_alu instid0(VALU_DEP_1) | instskip(NEXT) | instid1(VALU_DEP_1)
	v_and_b32_e32 v14, 0xff, v14
	v_lshl_add_u32 v18, v14, 2, v7
	ds_load_b32 v19, v18
	s_wait_dscnt 0x0
	v_cmpx_ne_u32_e64 v19, v12
	s_cbranch_execz .LBB22_16
; %bb.22:                               ;   in Loop: Header=BB22_19 Depth=2
	ds_cmpstore_rtn_b32 v18, v18, v12, v11
	s_mov_b32 s33, 0
	s_mov_b32 s27, exec_lo
	s_wait_dscnt 0x0
	v_cmpx_ne_u32_e32 -1, v18
	s_cbranch_execz .LBB22_15
; %bb.23:                               ;   in Loop: Header=BB22_19 Depth=2
	v_add_nc_u32_e32 v14, 2, v15
	s_mov_b32 s34, -1
	s_mov_b32 s33, -1
	s_mov_b32 s31, exec_lo
	s_delay_alu instid0(VALU_DEP_1) | instskip(NEXT) | instid1(VALU_DEP_1)
	v_and_b32_e32 v14, 0xff, v14
	v_lshl_add_u32 v18, v14, 2, v7
	ds_load_b32 v19, v18
	s_wait_dscnt 0x0
	v_cmpx_ne_u32_e64 v19, v12
	s_cbranch_execz .LBB22_14
; %bb.24:                               ;   in Loop: Header=BB22_19 Depth=2
	ds_cmpstore_rtn_b32 v18, v18, v12, v11
	s_mov_b32 s35, 0
	s_mov_b32 s33, exec_lo
	s_wait_dscnt 0x0
	v_cmpx_ne_u32_e32 -1, v18
	s_cbranch_execz .LBB22_13
; %bb.25:                               ;   in Loop: Header=BB22_19 Depth=2
	v_add_nc_u32_e32 v14, 3, v15
	s_mov_b32 s36, -1
	s_mov_b32 s35, -1
	s_delay_alu instid0(VALU_DEP_1) | instskip(NEXT) | instid1(VALU_DEP_1)
	v_and_b32_e32 v14, 0xff, v14
	v_lshl_add_u32 v18, v14, 2, v7
	ds_load_b32 v15, v18
	s_wait_dscnt 0x0
	v_cmp_ne_u32_e32 vcc_lo, v15, v12
                                        ; implicit-def: $vgpr15
	s_and_saveexec_b32 s34, vcc_lo
	s_cbranch_execz .LBB22_12
; %bb.26:                               ;   in Loop: Header=BB22_19 Depth=2
	ds_cmpstore_rtn_b32 v15, v18, v12, v11
	s_mov_b32 s35, 0
	s_wait_dscnt 0x0
	v_cmp_ne_u32_e32 vcc_lo, -1, v15
                                        ; implicit-def: $vgpr15
	s_and_saveexec_b32 s37, vcc_lo
	s_cbranch_execz .LBB22_11
; %bb.27:                               ;   in Loop: Header=BB22_19 Depth=2
	v_dual_add_nc_u32 v13, -4, v13 :: v_dual_add_nc_u32 v15, 1, v14
	s_mov_b32 s35, exec_lo
	s_delay_alu instid0(VALU_DEP_1)
	v_cmp_eq_u32_e32 vcc_lo, 0, v13
	s_or_not1_b32 s36, vcc_lo, exec_lo
	s_branch .LBB22_11
.LBB22_28:                              ;   in Loop: Header=BB22_10 Depth=1
	s_or_b32 exec_lo, exec_lo, s14
	s_xor_b32 s14, s15, -1
	s_delay_alu instid0(SALU_CYCLE_1) | instskip(NEXT) | instid1(SALU_CYCLE_1)
	s_and_saveexec_b32 s15, s14
	s_xor_b32 s14, exec_lo, s15
	s_cbranch_execz .LBB22_9
; %bb.29:                               ;   in Loop: Header=BB22_10 Depth=1
	v_lshl_add_u32 v12, v14, 2, v17
	ds_store_b32 v12, v10
	s_branch .LBB22_9
.LBB22_30:
	s_or_b32 exec_lo, exec_lo, s2
	s_delay_alu instid0(SALU_CYCLE_1)
	s_mov_b32 s2, exec_lo
	s_wait_loadcnt_dscnt 0x0
	v_cmpx_lt_i32_e64 v8, v6
	s_cbranch_execz .LBB22_60
; %bb.31:
	v_add_nc_u32_e32 v18, 1, v16
	s_mov_b32 s3, 0
	s_branch .LBB22_34
.LBB22_32:                              ;   in Loop: Header=BB22_34 Depth=1
	s_or_b32 exec_lo, exec_lo, s15
	v_add_nc_u32_e32 v8, 1, v8
	s_delay_alu instid0(VALU_DEP_1)
	v_cmp_ge_i32_e32 vcc_lo, v8, v6
	s_or_not1_b32 s15, vcc_lo, exec_lo
.LBB22_33:                              ;   in Loop: Header=BB22_34 Depth=1
	s_or_b32 exec_lo, exec_lo, s14
	s_delay_alu instid0(SALU_CYCLE_1) | instskip(NEXT) | instid1(SALU_CYCLE_1)
	s_and_b32 s14, exec_lo, s15
	s_or_b32 s3, s14, s3
	s_delay_alu instid0(SALU_CYCLE_1)
	s_and_not1_b32 exec_lo, exec_lo, s3
	s_cbranch_execz .LBB22_60
.LBB22_34:                              ; =>This Loop Header: Depth=1
                                        ;     Child Loop BB22_35 Depth 2
                                        ;     Child Loop BB22_40 Depth 2
                                        ;       Child Loop BB22_49 Depth 3
	s_clause 0x1
	global_load_b32 v9, v8, s[6:7] scale_offset
	global_load_b64 v[10:11], v8, s[8:9] scale_offset
	s_mov_b32 s14, 0
	s_wait_loadcnt 0x1
	v_subrev_nc_u32_e32 v12, s28, v9
	v_ashrrev_i32_e32 v9, 31, v8
	s_clause 0x1
	global_load_b32 v20, v12, s[4:5] offset:4 scale_offset
	global_load_b32 v19, v12, s[10:11] scale_offset
	v_ashrrev_i32_e32 v13, 31, v12
	v_lshl_add_u64 v[14:15], v[8:9], 3, s[8:9]
	s_wait_xcnt 0x0
	s_delay_alu instid0(VALU_DEP_2)
	v_lshl_add_u64 v[12:13], v[12:13], 2, s[12:13]
.LBB22_35:                              ;   Parent Loop BB22_34 Depth=1
                                        ; =>  This Inner Loop Header: Depth=2
	global_load_b32 v9, v[12:13], off scope:SCOPE_DEV
	s_wait_loadcnt 0x0
	v_cmp_ne_u32_e32 vcc_lo, 0, v9
	s_or_b32 s14, vcc_lo, s14
	s_wait_xcnt 0x0
	s_and_not1_b32 exec_lo, exec_lo, s14
	s_cbranch_execnz .LBB22_35
; %bb.36:                               ;   in Loop: Header=BB22_34 Depth=1
	s_or_b32 exec_lo, exec_lo, s14
	v_subrev_nc_u32_e32 v9, s28, v20
	v_cmp_eq_u32_e32 vcc_lo, -1, v19
	global_inv scope:SCOPE_DEV
	s_mov_b32 s15, -1
	s_mov_b32 s14, exec_lo
	v_add_nc_u32_e32 v12, -1, v9
	s_delay_alu instid0(VALU_DEP_1)
	v_cndmask_b32_e32 v19, v19, v12, vcc_lo
	global_load_b64 v[12:13], v19, s[8:9] scale_offset
	s_wait_loadcnt 0x0
	s_wait_xcnt 0x0
	v_cmpx_neq_f64_e32 0, v[12:13]
	s_cbranch_execz .LBB22_33
; %bb.37:                               ;   in Loop: Header=BB22_34 Depth=1
	v_div_scale_f64 v[20:21], null, v[12:13], v[12:13], v[10:11]
	s_mov_b32 s15, exec_lo
	v_rcp_f64_e32 v[22:23], v[20:21]
	v_nop
	s_delay_alu instid0(TRANS32_DEP_1) | instskip(NEXT) | instid1(VALU_DEP_1)
	v_fma_f64 v[24:25], -v[20:21], v[22:23], 1.0
	v_fmac_f64_e32 v[22:23], v[22:23], v[24:25]
	s_delay_alu instid0(VALU_DEP_1) | instskip(NEXT) | instid1(VALU_DEP_1)
	v_fma_f64 v[24:25], -v[20:21], v[22:23], 1.0
	v_fmac_f64_e32 v[22:23], v[22:23], v[24:25]
	v_div_scale_f64 v[24:25], vcc_lo, v[10:11], v[12:13], v[10:11]
	s_delay_alu instid0(VALU_DEP_1) | instskip(NEXT) | instid1(VALU_DEP_1)
	v_mul_f64_e32 v[26:27], v[24:25], v[22:23]
	v_fma_f64 v[20:21], -v[20:21], v[26:27], v[24:25]
	s_delay_alu instid0(VALU_DEP_1) | instskip(NEXT) | instid1(VALU_DEP_1)
	v_div_fmas_f64 v[20:21], v[20:21], v[22:23], v[26:27]
	v_div_fixup_f64 v[10:11], v[20:21], v[12:13], v[10:11]
	v_add_nc_u32_e32 v12, v18, v19
	global_store_b64 v[14:15], v[10:11], off
	s_wait_xcnt 0x0
	v_cmpx_lt_i32_e64 v12, v9
	s_cbranch_execz .LBB22_32
; %bb.38:                               ;   in Loop: Header=BB22_34 Depth=1
	s_mov_b32 s22, 0
	s_branch .LBB22_40
.LBB22_39:                              ;   in Loop: Header=BB22_40 Depth=2
	s_wait_xcnt 0x0
	s_or_b32 exec_lo, exec_lo, s23
	v_add_nc_u32_e32 v12, 64, v12
	s_delay_alu instid0(VALU_DEP_1) | instskip(SKIP_1) | instid1(SALU_CYCLE_1)
	v_cmp_ge_i32_e32 vcc_lo, v12, v9
	s_or_b32 s22, vcc_lo, s22
	s_and_not1_b32 exec_lo, exec_lo, s22
	s_cbranch_execz .LBB22_32
.LBB22_40:                              ;   Parent Loop BB22_34 Depth=1
                                        ; =>  This Loop Header: Depth=2
                                        ;       Child Loop BB22_49 Depth 3
	global_load_b32 v14, v12, s[6:7] scale_offset
	v_ashrrev_i32_e32 v13, 31, v12
	v_mov_b32_e32 v15, 0x100
	s_mov_b32 s23, 0
                                        ; implicit-def: $sgpr24
                                        ; implicit-def: $sgpr25
                                        ; implicit-def: $sgpr26
	s_wait_loadcnt 0x0
	v_mul_lo_u32 v20, 0x67, v14
	s_branch .LBB22_49
.LBB22_41:                              ;   in Loop: Header=BB22_49 Depth=3
	s_or_b32 exec_lo, exec_lo, s40
	s_delay_alu instid0(SALU_CYCLE_1)
	s_or_not1_b32 s38, s38, exec_lo
	s_or_not1_b32 s39, s39, exec_lo
.LBB22_42:                              ;   in Loop: Header=BB22_49 Depth=3
	s_or_b32 exec_lo, exec_lo, s37
	s_delay_alu instid0(SALU_CYCLE_1)
	s_and_b32 s38, s38, exec_lo
	s_or_not1_b32 s37, s39, exec_lo
.LBB22_43:                              ;   in Loop: Header=BB22_49 Depth=3
	s_or_b32 exec_lo, exec_lo, s36
	s_delay_alu instid0(SALU_CYCLE_1)
	s_or_not1_b32 s36, s38, exec_lo
	s_or_not1_b32 s37, s37, exec_lo
.LBB22_44:                              ;   in Loop: Header=BB22_49 Depth=3
	s_or_b32 exec_lo, exec_lo, s35
	s_delay_alu instid0(SALU_CYCLE_1)
	s_and_b32 s36, s36, exec_lo
	s_or_not1_b32 s35, s37, exec_lo
.LBB22_45:                              ;   in Loop: Header=BB22_49 Depth=3
	s_or_b32 exec_lo, exec_lo, s34
	s_delay_alu instid0(SALU_CYCLE_1)
	s_or_not1_b32 s34, s36, exec_lo
	s_or_not1_b32 s35, s35, exec_lo
.LBB22_46:                              ;   in Loop: Header=BB22_49 Depth=3
	s_or_b32 exec_lo, exec_lo, s33
	s_delay_alu instid0(SALU_CYCLE_1)
	s_and_b32 s34, s34, exec_lo
	s_or_not1_b32 s33, s35, exec_lo
.LBB22_47:                              ;   in Loop: Header=BB22_49 Depth=3
	s_or_b32 exec_lo, exec_lo, s31
	s_delay_alu instid0(SALU_CYCLE_1)
	s_and_not1_b32 s26, s26, exec_lo
	s_and_b32 s31, s34, exec_lo
	s_and_not1_b32 s25, s25, exec_lo
	s_and_b32 s33, s33, exec_lo
	s_or_b32 s26, s26, s31
	s_or_b32 s25, s25, s33
.LBB22_48:                              ;   in Loop: Header=BB22_49 Depth=3
	s_or_b32 exec_lo, exec_lo, s27
	s_delay_alu instid0(SALU_CYCLE_1) | instskip(NEXT) | instid1(SALU_CYCLE_1)
	s_and_b32 s27, exec_lo, s25
	s_or_b32 s23, s27, s23
	s_and_not1_b32 s24, s24, exec_lo
	s_and_b32 s27, s26, exec_lo
	s_delay_alu instid0(SALU_CYCLE_1)
	s_or_b32 s24, s24, s27
	s_and_not1_b32 exec_lo, exec_lo, s23
	s_cbranch_execz .LBB22_58
.LBB22_49:                              ;   Parent Loop BB22_34 Depth=1
                                        ;     Parent Loop BB22_40 Depth=2
                                        ; =>    This Inner Loop Header: Depth=3
	s_delay_alu instid0(VALU_DEP_1) | instskip(SKIP_3) | instid1(VALU_DEP_1)
	v_and_b32_e32 v19, 0xff, v20
	s_or_b32 s26, s26, exec_lo
	s_or_b32 s25, s25, exec_lo
	s_mov_b32 s27, exec_lo
	v_lshl_add_u32 v21, v19, 2, v7
	ds_load_b32 v21, v21
	s_wait_dscnt 0x0
	s_wait_xcnt 0x0
	v_cmpx_ne_u32_e32 -1, v21
	s_cbranch_execz .LBB22_48
; %bb.50:                               ;   in Loop: Header=BB22_49 Depth=3
	s_mov_b32 s33, -1
	s_mov_b32 s34, 0
	s_mov_b32 s31, exec_lo
	v_cmpx_ne_u32_e64 v21, v14
	s_cbranch_execz .LBB22_47
; %bb.51:                               ;   in Loop: Header=BB22_49 Depth=3
	v_add_nc_u32_e32 v19, 1, v20
	s_mov_b32 s35, -1
	s_mov_b32 s34, -1
	s_mov_b32 s33, exec_lo
	s_delay_alu instid0(VALU_DEP_1) | instskip(NEXT) | instid1(VALU_DEP_1)
	v_and_b32_e32 v19, 0xff, v19
	v_lshl_add_u32 v21, v19, 2, v7
	ds_load_b32 v21, v21
	s_wait_dscnt 0x0
	v_cmpx_ne_u32_e32 -1, v21
	s_cbranch_execz .LBB22_46
; %bb.52:                               ;   in Loop: Header=BB22_49 Depth=3
	s_mov_b32 s36, 0
	s_mov_b32 s34, exec_lo
	v_cmpx_ne_u32_e64 v21, v14
	s_cbranch_execz .LBB22_45
; %bb.53:                               ;   in Loop: Header=BB22_49 Depth=3
	v_add_nc_u32_e32 v19, 2, v20
	s_mov_b32 s37, -1
	s_mov_b32 s36, -1
	s_mov_b32 s35, exec_lo
	s_delay_alu instid0(VALU_DEP_1) | instskip(NEXT) | instid1(VALU_DEP_1)
	v_and_b32_e32 v19, 0xff, v19
	v_lshl_add_u32 v21, v19, 2, v7
	ds_load_b32 v21, v21
	s_wait_dscnt 0x0
	v_cmpx_ne_u32_e32 -1, v21
	s_cbranch_execz .LBB22_44
; %bb.54:                               ;   in Loop: Header=BB22_49 Depth=3
	s_mov_b32 s38, 0
	s_mov_b32 s36, exec_lo
	v_cmpx_ne_u32_e64 v21, v14
	s_cbranch_execz .LBB22_43
; %bb.55:                               ;   in Loop: Header=BB22_49 Depth=3
	v_add_nc_u32_e32 v19, 3, v20
	s_mov_b32 s39, -1
	s_mov_b32 s38, -1
	s_mov_b32 s37, exec_lo
	s_delay_alu instid0(VALU_DEP_1) | instskip(NEXT) | instid1(VALU_DEP_1)
	v_and_b32_e32 v19, 0xff, v19
	v_lshl_add_u32 v20, v19, 2, v7
	ds_load_b32 v21, v20
                                        ; implicit-def: $vgpr20
	s_wait_dscnt 0x0
	v_cmpx_ne_u32_e32 -1, v21
	s_cbranch_execz .LBB22_42
; %bb.56:                               ;   in Loop: Header=BB22_49 Depth=3
	s_mov_b32 s38, 0
	s_mov_b32 s40, exec_lo
                                        ; implicit-def: $vgpr20
	v_cmpx_ne_u32_e64 v21, v14
	s_cbranch_execz .LBB22_41
; %bb.57:                               ;   in Loop: Header=BB22_49 Depth=3
	v_add_nc_u32_e32 v15, -4, v15
	v_add_nc_u32_e32 v20, 1, v19
	s_mov_b32 s38, exec_lo
	s_delay_alu instid0(VALU_DEP_2)
	v_cmp_eq_u32_e32 vcc_lo, 0, v15
	s_or_not1_b32 s39, vcc_lo, exec_lo
	s_branch .LBB22_41
.LBB22_58:                              ;   in Loop: Header=BB22_40 Depth=2
	s_or_b32 exec_lo, exec_lo, s23
	s_xor_b32 s23, s24, -1
	s_delay_alu instid0(SALU_CYCLE_1) | instskip(NEXT) | instid1(SALU_CYCLE_1)
	s_and_saveexec_b32 s24, s23
	s_xor_b32 s23, exec_lo, s24
	s_cbranch_execz .LBB22_39
; %bb.59:                               ;   in Loop: Header=BB22_40 Depth=2
	v_lshl_add_u32 v14, v19, 2, v17
	ds_load_b32 v19, v14
	v_lshl_add_u64 v[14:15], v[12:13], 3, s[8:9]
	global_load_b64 v[20:21], v[14:15], off
	s_wait_dscnt 0x0
	global_load_b64 v[22:23], v19, s[8:9] scale_offset
	s_wait_loadcnt 0x0
	s_wait_xcnt 0x1
	v_fma_f64 v[14:15], -v[10:11], v[20:21], v[22:23]
	global_store_b64 v19, v[14:15], s[8:9] scale_offset
	s_branch .LBB22_39
.LBB22_60:
	s_or_b32 exec_lo, exec_lo, s2
	s_mov_b32 s4, -1
	s_mov_b32 s3, exec_lo
	s_wait_storecnt 0x0
	v_cmpx_lt_i32_e32 -1, v6
	s_cbranch_execz .LBB22_76
; %bb.61:
	global_load_b64 v[8:9], v6, s[8:9] scale_offset
	v_cmp_eq_u32_e64 s2, 0, v16
	s_wait_loadcnt 0x0
	v_cmp_gt_f64_e32 vcc_lo, 0, v[8:9]
	v_xor_b32_e32 v7, 0x80000000, v9
	s_delay_alu instid0(VALU_DEP_1)
	v_dual_mov_b32 v10, v8 :: v_dual_cndmask_b32 v11, v9, v7
	s_and_not1_b32 vcc_lo, exec_lo, s29
	s_cbranch_vccnz .LBB22_65
; %bb.62:
	v_cvt_f64_f32_e32 v[12:13], s30
	s_cmp_eq_u64 s[20:21], 8
	s_cselect_b32 vcc_lo, -1, 0
	s_delay_alu instid0(VALU_DEP_1) | instskip(NEXT) | instid1(VALU_DEP_1)
	v_dual_cndmask_b32 v3, v13, v3 :: v_dual_cndmask_b32 v2, v12, v2
	v_cmp_le_f64_e32 vcc_lo, v[10:11], v[2:3]
	s_and_b32 s5, s2, vcc_lo
	s_delay_alu instid0(SALU_CYCLE_1)
	s_and_saveexec_b32 s4, s5
	s_cbranch_execz .LBB22_64
; %bb.63:
	v_mov_b32_e32 v7, 0
	s_delay_alu instid0(VALU_DEP_1)
	v_lshl_add_u64 v[2:3], v[6:7], 3, s[8:9]
	global_store_b64 v[2:3], v[4:5], off
	global_wb scope:SCOPE_DEV
	s_wait_storecnt 0x0
	global_inv scope:SCOPE_DEV
.LBB22_64:
	s_wait_xcnt 0x0
	s_or_b32 exec_lo, exec_lo, s4
	s_mov_b32 s4, 0
.LBB22_65:
	s_delay_alu instid0(SALU_CYCLE_1)
	s_and_not1_b32 vcc_lo, exec_lo, s4
	s_cbranch_vccnz .LBB22_76
; %bb.66:
	s_load_b64 s[0:1], s[0:1], 0x48
	v_add_nc_u32_e32 v2, s28, v0
	s_wait_kmcnt 0x0
	v_cmp_ge_f64_e32 vcc_lo, s[0:1], v[10:11]
	s_and_b32 s1, s2, vcc_lo
	s_delay_alu instid0(SALU_CYCLE_1)
	s_and_saveexec_b32 s0, s1
	s_cbranch_execz .LBB22_71
; %bb.67:
	s_mov_b32 s4, exec_lo
	s_brev_b32 s1, -2
.LBB22_68:                              ; =>This Inner Loop Header: Depth=1
	s_ctz_i32_b32 s5, s4
	s_delay_alu instid0(SALU_CYCLE_1) | instskip(SKIP_1) | instid1(SALU_CYCLE_1)
	v_readlane_b32 s6, v2, s5
	s_lshl_b32 s5, 1, s5
	s_and_not1_b32 s4, s4, s5
	s_min_i32 s1, s1, s6
	s_cmp_lg_u32 s4, 0
	s_cbranch_scc1 .LBB22_68
; %bb.69:
	v_mbcnt_lo_u32_b32 v3, exec_lo, 0
	s_mov_b32 s4, exec_lo
	s_delay_alu instid0(VALU_DEP_1)
	v_cmpx_eq_u32_e32 0, v3
	s_xor_b32 s4, exec_lo, s4
	s_cbranch_execz .LBB22_71
; %bb.70:
	v_dual_mov_b32 v3, 0 :: v_dual_mov_b32 v4, s1
	global_atomic_min_i32 v3, v4, s[18:19] scope:SCOPE_DEV
.LBB22_71:
	s_wait_xcnt 0x0
	s_or_b32 exec_lo, exec_lo, s0
	v_cmp_eq_f64_e32 vcc_lo, 0, v[8:9]
	s_and_b32 s0, s2, vcc_lo
	s_delay_alu instid0(SALU_CYCLE_1)
	s_and_b32 exec_lo, exec_lo, s0
	s_cbranch_execz .LBB22_76
; %bb.72:
	s_mov_b32 s1, exec_lo
	s_brev_b32 s0, -2
.LBB22_73:                              ; =>This Inner Loop Header: Depth=1
	s_ctz_i32_b32 s2, s1
	s_delay_alu instid0(SALU_CYCLE_1) | instskip(SKIP_1) | instid1(SALU_CYCLE_1)
	v_readlane_b32 s4, v2, s2
	s_lshl_b32 s2, 1, s2
	s_and_not1_b32 s1, s1, s2
	s_min_i32 s0, s0, s4
	s_cmp_lg_u32 s1, 0
	s_cbranch_scc1 .LBB22_73
; %bb.74:
	v_mbcnt_lo_u32_b32 v2, exec_lo, 0
	s_mov_b32 s1, exec_lo
	s_delay_alu instid0(VALU_DEP_1)
	v_cmpx_eq_u32_e32 0, v2
	s_xor_b32 s1, exec_lo, s1
	s_cbranch_execz .LBB22_76
; %bb.75:
	v_dual_mov_b32 v2, 0 :: v_dual_mov_b32 v3, s0
	global_atomic_min_i32 v2, v3, s[16:17] scope:SCOPE_DEV
.LBB22_76:
	s_wait_xcnt 0x0
	s_or_b32 exec_lo, exec_lo, s3
	v_cmp_eq_u32_e32 vcc_lo, 0, v16
	global_wb scope:SCOPE_DEV
	s_wait_loadcnt 0x0
	s_wait_storecnt 0x0
	global_inv scope:SCOPE_DEV
	s_and_b32 exec_lo, exec_lo, vcc_lo
	s_cbranch_execz .LBB22_78
; %bb.77:
	v_lshl_add_u64 v[0:1], v[0:1], 2, s[12:13]
	v_mov_b32_e32 v2, 1
	global_wb scope:SCOPE_DEV
	s_wait_loadcnt 0x0
	s_wait_storecnt 0x0
	global_store_b32 v[0:1], v2, off scope:SCOPE_DEV
.LBB22_78:
	s_endpgm
	.section	.rodata,"a",@progbits
	.p2align	6, 0x0
	.amdhsa_kernel _ZN9rocsparseL12csrilu0_hashILj256ELj64ELj4EdEEviPKiS2_PT2_S2_PiS2_S5_S5_d21rocsparse_index_base_imNS_24const_host_device_scalarIfEENS7_IdEENS7_IS3_EEb
		.amdhsa_group_segment_fixed_size 8192
		.amdhsa_private_segment_fixed_size 0
		.amdhsa_kernarg_size 124
		.amdhsa_user_sgpr_count 2
		.amdhsa_user_sgpr_dispatch_ptr 0
		.amdhsa_user_sgpr_queue_ptr 0
		.amdhsa_user_sgpr_kernarg_segment_ptr 1
		.amdhsa_user_sgpr_dispatch_id 0
		.amdhsa_user_sgpr_kernarg_preload_length 0
		.amdhsa_user_sgpr_kernarg_preload_offset 0
		.amdhsa_user_sgpr_private_segment_size 0
		.amdhsa_wavefront_size32 1
		.amdhsa_uses_dynamic_stack 0
		.amdhsa_enable_private_segment 0
		.amdhsa_system_sgpr_workgroup_id_x 1
		.amdhsa_system_sgpr_workgroup_id_y 0
		.amdhsa_system_sgpr_workgroup_id_z 0
		.amdhsa_system_sgpr_workgroup_info 0
		.amdhsa_system_vgpr_workitem_id 0
		.amdhsa_next_free_vgpr 28
		.amdhsa_next_free_sgpr 41
		.amdhsa_named_barrier_count 0
		.amdhsa_reserve_vcc 1
		.amdhsa_float_round_mode_32 0
		.amdhsa_float_round_mode_16_64 0
		.amdhsa_float_denorm_mode_32 3
		.amdhsa_float_denorm_mode_16_64 3
		.amdhsa_fp16_overflow 0
		.amdhsa_memory_ordered 1
		.amdhsa_forward_progress 1
		.amdhsa_inst_pref_size 22
		.amdhsa_round_robin_scheduling 0
		.amdhsa_exception_fp_ieee_invalid_op 0
		.amdhsa_exception_fp_denorm_src 0
		.amdhsa_exception_fp_ieee_div_zero 0
		.amdhsa_exception_fp_ieee_overflow 0
		.amdhsa_exception_fp_ieee_underflow 0
		.amdhsa_exception_fp_ieee_inexact 0
		.amdhsa_exception_int_div_zero 0
	.end_amdhsa_kernel
	.section	.text._ZN9rocsparseL12csrilu0_hashILj256ELj64ELj4EdEEviPKiS2_PT2_S2_PiS2_S5_S5_d21rocsparse_index_base_imNS_24const_host_device_scalarIfEENS7_IdEENS7_IS3_EEb,"axG",@progbits,_ZN9rocsparseL12csrilu0_hashILj256ELj64ELj4EdEEviPKiS2_PT2_S2_PiS2_S5_S5_d21rocsparse_index_base_imNS_24const_host_device_scalarIfEENS7_IdEENS7_IS3_EEb,comdat
.Lfunc_end22:
	.size	_ZN9rocsparseL12csrilu0_hashILj256ELj64ELj4EdEEviPKiS2_PT2_S2_PiS2_S5_S5_d21rocsparse_index_base_imNS_24const_host_device_scalarIfEENS7_IdEENS7_IS3_EEb, .Lfunc_end22-_ZN9rocsparseL12csrilu0_hashILj256ELj64ELj4EdEEviPKiS2_PT2_S2_PiS2_S5_S5_d21rocsparse_index_base_imNS_24const_host_device_scalarIfEENS7_IdEENS7_IS3_EEb
                                        ; -- End function
	.set _ZN9rocsparseL12csrilu0_hashILj256ELj64ELj4EdEEviPKiS2_PT2_S2_PiS2_S5_S5_d21rocsparse_index_base_imNS_24const_host_device_scalarIfEENS7_IdEENS7_IS3_EEb.num_vgpr, 28
	.set _ZN9rocsparseL12csrilu0_hashILj256ELj64ELj4EdEEviPKiS2_PT2_S2_PiS2_S5_S5_d21rocsparse_index_base_imNS_24const_host_device_scalarIfEENS7_IdEENS7_IS3_EEb.num_agpr, 0
	.set _ZN9rocsparseL12csrilu0_hashILj256ELj64ELj4EdEEviPKiS2_PT2_S2_PiS2_S5_S5_d21rocsparse_index_base_imNS_24const_host_device_scalarIfEENS7_IdEENS7_IS3_EEb.numbered_sgpr, 41
	.set _ZN9rocsparseL12csrilu0_hashILj256ELj64ELj4EdEEviPKiS2_PT2_S2_PiS2_S5_S5_d21rocsparse_index_base_imNS_24const_host_device_scalarIfEENS7_IdEENS7_IS3_EEb.num_named_barrier, 0
	.set _ZN9rocsparseL12csrilu0_hashILj256ELj64ELj4EdEEviPKiS2_PT2_S2_PiS2_S5_S5_d21rocsparse_index_base_imNS_24const_host_device_scalarIfEENS7_IdEENS7_IS3_EEb.private_seg_size, 0
	.set _ZN9rocsparseL12csrilu0_hashILj256ELj64ELj4EdEEviPKiS2_PT2_S2_PiS2_S5_S5_d21rocsparse_index_base_imNS_24const_host_device_scalarIfEENS7_IdEENS7_IS3_EEb.uses_vcc, 1
	.set _ZN9rocsparseL12csrilu0_hashILj256ELj64ELj4EdEEviPKiS2_PT2_S2_PiS2_S5_S5_d21rocsparse_index_base_imNS_24const_host_device_scalarIfEENS7_IdEENS7_IS3_EEb.uses_flat_scratch, 0
	.set _ZN9rocsparseL12csrilu0_hashILj256ELj64ELj4EdEEviPKiS2_PT2_S2_PiS2_S5_S5_d21rocsparse_index_base_imNS_24const_host_device_scalarIfEENS7_IdEENS7_IS3_EEb.has_dyn_sized_stack, 0
	.set _ZN9rocsparseL12csrilu0_hashILj256ELj64ELj4EdEEviPKiS2_PT2_S2_PiS2_S5_S5_d21rocsparse_index_base_imNS_24const_host_device_scalarIfEENS7_IdEENS7_IS3_EEb.has_recursion, 0
	.set _ZN9rocsparseL12csrilu0_hashILj256ELj64ELj4EdEEviPKiS2_PT2_S2_PiS2_S5_S5_d21rocsparse_index_base_imNS_24const_host_device_scalarIfEENS7_IdEENS7_IS3_EEb.has_indirect_call, 0
	.section	.AMDGPU.csdata,"",@progbits
; Kernel info:
; codeLenInByte = 2816
; TotalNumSgprs: 43
; NumVgprs: 28
; ScratchSize: 0
; MemoryBound: 0
; FloatMode: 240
; IeeeMode: 1
; LDSByteSize: 8192 bytes/workgroup (compile time only)
; SGPRBlocks: 0
; VGPRBlocks: 1
; NumSGPRsForWavesPerEU: 43
; NumVGPRsForWavesPerEU: 28
; NamedBarCnt: 0
; Occupancy: 16
; WaveLimiterHint : 1
; COMPUTE_PGM_RSRC2:SCRATCH_EN: 0
; COMPUTE_PGM_RSRC2:USER_SGPR: 2
; COMPUTE_PGM_RSRC2:TRAP_HANDLER: 0
; COMPUTE_PGM_RSRC2:TGID_X_EN: 1
; COMPUTE_PGM_RSRC2:TGID_Y_EN: 0
; COMPUTE_PGM_RSRC2:TGID_Z_EN: 0
; COMPUTE_PGM_RSRC2:TIDIG_COMP_CNT: 0
	.section	.text._ZN9rocsparseL12csrilu0_hashILj256ELj64ELj8EdEEviPKiS2_PT2_S2_PiS2_S5_S5_d21rocsparse_index_base_imNS_24const_host_device_scalarIfEENS7_IdEENS7_IS3_EEb,"axG",@progbits,_ZN9rocsparseL12csrilu0_hashILj256ELj64ELj8EdEEviPKiS2_PT2_S2_PiS2_S5_S5_d21rocsparse_index_base_imNS_24const_host_device_scalarIfEENS7_IdEENS7_IS3_EEb,comdat
	.globl	_ZN9rocsparseL12csrilu0_hashILj256ELj64ELj8EdEEviPKiS2_PT2_S2_PiS2_S5_S5_d21rocsparse_index_base_imNS_24const_host_device_scalarIfEENS7_IdEENS7_IS3_EEb ; -- Begin function _ZN9rocsparseL12csrilu0_hashILj256ELj64ELj8EdEEviPKiS2_PT2_S2_PiS2_S5_S5_d21rocsparse_index_base_imNS_24const_host_device_scalarIfEENS7_IdEENS7_IS3_EEb
	.p2align	8
	.type	_ZN9rocsparseL12csrilu0_hashILj256ELj64ELj8EdEEviPKiS2_PT2_S2_PiS2_S5_S5_d21rocsparse_index_base_imNS_24const_host_device_scalarIfEENS7_IdEENS7_IS3_EEb,@function
_ZN9rocsparseL12csrilu0_hashILj256ELj64ELj8EdEEviPKiS2_PT2_S2_PiS2_S5_S5_d21rocsparse_index_base_imNS_24const_host_device_scalarIfEENS7_IdEENS7_IS3_EEb: ; @_ZN9rocsparseL12csrilu0_hashILj256ELj64ELj8EdEEviPKiS2_PT2_S2_PiS2_S5_S5_d21rocsparse_index_base_imNS_24const_host_device_scalarIfEENS7_IdEENS7_IS3_EEb
; %bb.0:
	s_clause 0x2
	s_load_b32 s2, s[0:1], 0x78
	s_load_b64 s[28:29], s[0:1], 0x50
	s_load_b256 s[20:27], s[0:1], 0x58
	s_wait_kmcnt 0x0
	s_bitcmp1_b32 s2, 0
	s_cselect_b32 s2, -1, 0
	s_cmp_eq_u32 s29, 0
	s_cselect_b32 s4, -1, 0
	s_cmp_lg_u32 s29, 0
	s_cselect_b32 s29, -1, 0
	s_or_b32 s6, s4, s2
	s_delay_alu instid0(SALU_CYCLE_1)
	s_xor_b32 s5, s6, -1
	s_and_b32 s2, s4, exec_lo
	s_cselect_b32 s3, 0, s25
	s_cselect_b32 s2, 0, s24
	;; [unrolled: 1-line block ×3, first 2 shown]
	s_and_b32 vcc_lo, exec_lo, s6
	s_cbranch_vccnz .LBB23_2
; %bb.1:
	s_load_b32 s30, s[22:23], 0x0
	s_mov_b64 s[2:3], s[24:25]
.LBB23_2:
	s_delay_alu instid0(SALU_CYCLE_1)
	v_mov_b64_e32 v[2:3], s[2:3]
	v_cndmask_b32_e64 v1, 0, 1, s5
	s_and_not1_b32 vcc_lo, exec_lo, s5
	s_cbranch_vccnz .LBB23_4
; %bb.3:
	v_mov_b32_e32 v2, 0
	flat_load_b64 v[2:3], v2, s[24:25]
.LBB23_4:
	s_and_b32 s2, s4, exec_lo
	s_cselect_b32 s3, 0, s27
	s_cselect_b32 s2, 0, s26
	v_cmp_ne_u32_e32 vcc_lo, 1, v1
	v_mov_b64_e32 v[4:5], s[2:3]
	s_cbranch_vccnz .LBB23_6
; %bb.5:
	v_mov_b32_e32 v1, 0
	flat_load_b64 v[4:5], v1, s[26:27]
.LBB23_6:
	s_load_b32 s2, s[0:1], 0x0
	s_bfe_u32 s3, ttmp6, 0x4000c
	v_dual_lshlrev_b32 v1, 3, v0 :: v_dual_bitop2_b32 v16, 63, v0 bitop3:0x40
	s_add_co_i32 s3, s3, 1
	s_and_b32 s4, ttmp6, 15
	s_mul_i32 s3, ttmp9, s3
	s_getreg_b32 s5, hwreg(HW_REG_IB_STS2, 6, 4)
	s_add_co_i32 s4, s4, s3
	s_cmp_eq_u32 s5, 0
	v_and_b32_e32 v11, 0x600, v1
	v_dual_mov_b32 v1, -1 :: v_dual_lshrrev_b32 v0, 6, v0
	s_cselect_b32 s3, ttmp9, s4
	s_delay_alu instid0(SALU_CYCLE_1) | instskip(NEXT) | instid1(VALU_DEP_2)
	s_lshl_b32 s3, s3, 2
	v_lshl_or_b32 v7, v11, 2, 0x2000
	s_delay_alu instid0(VALU_DEP_2) | instskip(NEXT) | instid1(VALU_DEP_2)
	v_and_or_b32 v0, 0x3fffffc, s3, v0
	v_lshl_or_b32 v6, v16, 2, v7
	s_wait_kmcnt 0x0
	s_delay_alu instid0(VALU_DEP_2)
	v_cmp_gt_i32_e32 vcc_lo, s2, v0
	ds_store_2addr_stride64_b32 v6, v1, v1 offset1:1
	ds_store_2addr_stride64_b32 v6, v1, v1 offset0:2 offset1:3
	ds_store_2addr_stride64_b32 v6, v1, v1 offset0:4 offset1:5
	ds_store_2addr_stride64_b32 v6, v1, v1 offset0:6 offset1:7
	s_wait_loadcnt_dscnt 0x0
	s_and_saveexec_b32 s2, vcc_lo
	s_cbranch_execz .LBB23_78
; %bb.7:
	s_load_b512 s[4:19], s[0:1], 0x8
	s_mov_b32 s2, exec_lo
	v_lshlrev_b32_e32 v17, 2, v11
	s_wait_kmcnt 0x0
	global_load_b32 v0, v0, s[14:15] scale_offset
	s_wait_loadcnt 0x0
	v_ashrrev_i32_e32 v1, 31, v0
	s_delay_alu instid0(VALU_DEP_1)
	v_lshl_add_u64 v[8:9], v[0:1], 2, s[4:5]
	global_load_b64 v[12:13], v[8:9], off
	global_load_b32 v6, v0, s[10:11] scale_offset
	s_wait_loadcnt 0x1
	s_wait_xcnt 0x1
	v_subrev_nc_u32_e32 v8, s28, v12
	v_subrev_nc_u32_e32 v9, s28, v13
	s_delay_alu instid0(VALU_DEP_2) | instskip(SKIP_1) | instid1(VALU_DEP_1)
	v_add_nc_u32_e32 v10, v8, v16
	s_wait_xcnt 0x0
	v_cmpx_lt_i32_e64 v10, v9
	s_cbranch_execz .LBB23_30
; %bb.8:
	v_mov_b32_e32 v11, -1
	s_mov_b32 s3, 0
	s_branch .LBB23_10
.LBB23_9:                               ;   in Loop: Header=BB23_10 Depth=1
	s_or_b32 exec_lo, exec_lo, s14
	v_add_nc_u32_e32 v10, 64, v10
	s_delay_alu instid0(VALU_DEP_1) | instskip(SKIP_1) | instid1(SALU_CYCLE_1)
	v_cmp_ge_i32_e32 vcc_lo, v10, v9
	s_or_b32 s3, vcc_lo, s3
	s_and_not1_b32 exec_lo, exec_lo, s3
	s_cbranch_execz .LBB23_30
.LBB23_10:                              ; =>This Loop Header: Depth=1
                                        ;     Child Loop BB23_19 Depth 2
	global_load_b32 v12, v10, s[6:7] scale_offset
	v_mov_b32_e32 v13, 0x200
	s_mov_b32 s14, 0
                                        ; implicit-def: $sgpr15
                                        ; implicit-def: $sgpr22
                                        ; implicit-def: $sgpr23
	s_wait_loadcnt 0x0
	v_mul_lo_u32 v15, 0x67, v12
	s_branch .LBB23_19
.LBB23_11:                              ;   in Loop: Header=BB23_19 Depth=2
	s_or_b32 exec_lo, exec_lo, s37
	s_delay_alu instid0(SALU_CYCLE_1)
	s_or_not1_b32 s35, s35, exec_lo
	s_or_not1_b32 s36, s36, exec_lo
.LBB23_12:                              ;   in Loop: Header=BB23_19 Depth=2
	s_or_b32 exec_lo, exec_lo, s34
	s_delay_alu instid0(SALU_CYCLE_1)
	s_and_b32 s35, s35, exec_lo
	s_or_not1_b32 s34, s36, exec_lo
.LBB23_13:                              ;   in Loop: Header=BB23_19 Depth=2
	s_or_b32 exec_lo, exec_lo, s33
	s_delay_alu instid0(SALU_CYCLE_1)
	s_or_not1_b32 s33, s35, exec_lo
	s_or_not1_b32 s34, s34, exec_lo
.LBB23_14:                              ;   in Loop: Header=BB23_19 Depth=2
	s_or_b32 exec_lo, exec_lo, s31
	s_delay_alu instid0(SALU_CYCLE_1)
	s_and_b32 s33, s33, exec_lo
	s_or_not1_b32 s31, s34, exec_lo
.LBB23_15:                              ;   in Loop: Header=BB23_19 Depth=2
	s_or_b32 exec_lo, exec_lo, s27
	s_delay_alu instid0(SALU_CYCLE_1)
	s_or_not1_b32 s27, s33, exec_lo
	s_or_not1_b32 s31, s31, exec_lo
.LBB23_16:                              ;   in Loop: Header=BB23_19 Depth=2
	s_or_b32 exec_lo, exec_lo, s26
	s_delay_alu instid0(SALU_CYCLE_1)
	s_and_b32 s27, s27, exec_lo
	s_or_not1_b32 s26, s31, exec_lo
.LBB23_17:                              ;   in Loop: Header=BB23_19 Depth=2
	s_or_b32 exec_lo, exec_lo, s25
	s_delay_alu instid0(SALU_CYCLE_1)
	s_and_not1_b32 s23, s23, exec_lo
	s_and_b32 s25, s27, exec_lo
	s_and_not1_b32 s22, s22, exec_lo
	s_and_b32 s26, s26, exec_lo
	s_or_b32 s23, s23, s25
	s_or_b32 s22, s22, s26
.LBB23_18:                              ;   in Loop: Header=BB23_19 Depth=2
	s_or_b32 exec_lo, exec_lo, s24
	s_delay_alu instid0(SALU_CYCLE_1) | instskip(NEXT) | instid1(SALU_CYCLE_1)
	s_and_b32 s24, exec_lo, s22
	s_or_b32 s14, s24, s14
	s_and_not1_b32 s15, s15, exec_lo
	s_and_b32 s24, s23, exec_lo
	s_delay_alu instid0(SALU_CYCLE_1)
	s_or_b32 s15, s15, s24
	s_and_not1_b32 exec_lo, exec_lo, s14
	s_cbranch_execz .LBB23_28
.LBB23_19:                              ;   Parent Loop BB23_10 Depth=1
                                        ; =>  This Inner Loop Header: Depth=2
	s_delay_alu instid0(VALU_DEP_1) | instskip(SKIP_3) | instid1(VALU_DEP_1)
	v_and_b32_e32 v14, 0x1ff, v15
	s_or_b32 s23, s23, exec_lo
	s_or_b32 s22, s22, exec_lo
	s_mov_b32 s24, exec_lo
	v_lshl_add_u32 v18, v14, 2, v7
	ds_load_b32 v19, v18
	s_wait_dscnt 0x0
	s_wait_xcnt 0x0
	v_cmpx_ne_u32_e64 v19, v12
	s_cbranch_execz .LBB23_18
; %bb.20:                               ;   in Loop: Header=BB23_19 Depth=2
	ds_cmpstore_rtn_b32 v18, v18, v12, v11
	s_mov_b32 s26, -1
	s_mov_b32 s27, 0
	s_mov_b32 s25, exec_lo
	s_wait_dscnt 0x0
	v_cmpx_ne_u32_e32 -1, v18
	s_cbranch_execz .LBB23_17
; %bb.21:                               ;   in Loop: Header=BB23_19 Depth=2
	v_add_nc_u32_e32 v14, 1, v15
	s_mov_b32 s31, -1
	s_mov_b32 s27, -1
	s_mov_b32 s26, exec_lo
	s_delay_alu instid0(VALU_DEP_1) | instskip(NEXT) | instid1(VALU_DEP_1)
	v_and_b32_e32 v14, 0x1ff, v14
	v_lshl_add_u32 v18, v14, 2, v7
	ds_load_b32 v19, v18
	s_wait_dscnt 0x0
	v_cmpx_ne_u32_e64 v19, v12
	s_cbranch_execz .LBB23_16
; %bb.22:                               ;   in Loop: Header=BB23_19 Depth=2
	ds_cmpstore_rtn_b32 v18, v18, v12, v11
	s_mov_b32 s33, 0
	s_mov_b32 s27, exec_lo
	s_wait_dscnt 0x0
	v_cmpx_ne_u32_e32 -1, v18
	s_cbranch_execz .LBB23_15
; %bb.23:                               ;   in Loop: Header=BB23_19 Depth=2
	v_add_nc_u32_e32 v14, 2, v15
	s_mov_b32 s34, -1
	s_mov_b32 s33, -1
	s_mov_b32 s31, exec_lo
	s_delay_alu instid0(VALU_DEP_1) | instskip(NEXT) | instid1(VALU_DEP_1)
	v_and_b32_e32 v14, 0x1ff, v14
	v_lshl_add_u32 v18, v14, 2, v7
	ds_load_b32 v19, v18
	s_wait_dscnt 0x0
	v_cmpx_ne_u32_e64 v19, v12
	s_cbranch_execz .LBB23_14
; %bb.24:                               ;   in Loop: Header=BB23_19 Depth=2
	ds_cmpstore_rtn_b32 v18, v18, v12, v11
	s_mov_b32 s35, 0
	s_mov_b32 s33, exec_lo
	s_wait_dscnt 0x0
	v_cmpx_ne_u32_e32 -1, v18
	s_cbranch_execz .LBB23_13
; %bb.25:                               ;   in Loop: Header=BB23_19 Depth=2
	v_add_nc_u32_e32 v14, 3, v15
	s_mov_b32 s36, -1
	s_mov_b32 s35, -1
	s_delay_alu instid0(VALU_DEP_1) | instskip(NEXT) | instid1(VALU_DEP_1)
	v_and_b32_e32 v14, 0x1ff, v14
	v_lshl_add_u32 v18, v14, 2, v7
	ds_load_b32 v15, v18
	s_wait_dscnt 0x0
	v_cmp_ne_u32_e32 vcc_lo, v15, v12
                                        ; implicit-def: $vgpr15
	s_and_saveexec_b32 s34, vcc_lo
	s_cbranch_execz .LBB23_12
; %bb.26:                               ;   in Loop: Header=BB23_19 Depth=2
	ds_cmpstore_rtn_b32 v15, v18, v12, v11
	s_mov_b32 s35, 0
	s_wait_dscnt 0x0
	v_cmp_ne_u32_e32 vcc_lo, -1, v15
                                        ; implicit-def: $vgpr15
	s_and_saveexec_b32 s37, vcc_lo
	s_cbranch_execz .LBB23_11
; %bb.27:                               ;   in Loop: Header=BB23_19 Depth=2
	v_dual_add_nc_u32 v13, -4, v13 :: v_dual_add_nc_u32 v15, 1, v14
	s_mov_b32 s35, exec_lo
	s_delay_alu instid0(VALU_DEP_1)
	v_cmp_eq_u32_e32 vcc_lo, 0, v13
	s_or_not1_b32 s36, vcc_lo, exec_lo
	s_branch .LBB23_11
.LBB23_28:                              ;   in Loop: Header=BB23_10 Depth=1
	s_or_b32 exec_lo, exec_lo, s14
	s_xor_b32 s14, s15, -1
	s_delay_alu instid0(SALU_CYCLE_1) | instskip(NEXT) | instid1(SALU_CYCLE_1)
	s_and_saveexec_b32 s15, s14
	s_xor_b32 s14, exec_lo, s15
	s_cbranch_execz .LBB23_9
; %bb.29:                               ;   in Loop: Header=BB23_10 Depth=1
	v_lshl_add_u32 v12, v14, 2, v17
	ds_store_b32 v12, v10
	s_branch .LBB23_9
.LBB23_30:
	s_or_b32 exec_lo, exec_lo, s2
	s_delay_alu instid0(SALU_CYCLE_1)
	s_mov_b32 s2, exec_lo
	s_wait_loadcnt_dscnt 0x0
	v_cmpx_lt_i32_e64 v8, v6
	s_cbranch_execz .LBB23_60
; %bb.31:
	v_add_nc_u32_e32 v18, 1, v16
	s_mov_b32 s3, 0
	s_branch .LBB23_34
.LBB23_32:                              ;   in Loop: Header=BB23_34 Depth=1
	s_or_b32 exec_lo, exec_lo, s15
	v_add_nc_u32_e32 v8, 1, v8
	s_delay_alu instid0(VALU_DEP_1)
	v_cmp_ge_i32_e32 vcc_lo, v8, v6
	s_or_not1_b32 s15, vcc_lo, exec_lo
.LBB23_33:                              ;   in Loop: Header=BB23_34 Depth=1
	s_or_b32 exec_lo, exec_lo, s14
	s_delay_alu instid0(SALU_CYCLE_1) | instskip(NEXT) | instid1(SALU_CYCLE_1)
	s_and_b32 s14, exec_lo, s15
	s_or_b32 s3, s14, s3
	s_delay_alu instid0(SALU_CYCLE_1)
	s_and_not1_b32 exec_lo, exec_lo, s3
	s_cbranch_execz .LBB23_60
.LBB23_34:                              ; =>This Loop Header: Depth=1
                                        ;     Child Loop BB23_35 Depth 2
                                        ;     Child Loop BB23_40 Depth 2
                                        ;       Child Loop BB23_49 Depth 3
	s_clause 0x1
	global_load_b32 v9, v8, s[6:7] scale_offset
	global_load_b64 v[10:11], v8, s[8:9] scale_offset
	s_mov_b32 s14, 0
	s_wait_loadcnt 0x1
	v_subrev_nc_u32_e32 v12, s28, v9
	v_ashrrev_i32_e32 v9, 31, v8
	s_clause 0x1
	global_load_b32 v20, v12, s[4:5] offset:4 scale_offset
	global_load_b32 v19, v12, s[10:11] scale_offset
	v_ashrrev_i32_e32 v13, 31, v12
	v_lshl_add_u64 v[14:15], v[8:9], 3, s[8:9]
	s_wait_xcnt 0x0
	s_delay_alu instid0(VALU_DEP_2)
	v_lshl_add_u64 v[12:13], v[12:13], 2, s[12:13]
.LBB23_35:                              ;   Parent Loop BB23_34 Depth=1
                                        ; =>  This Inner Loop Header: Depth=2
	global_load_b32 v9, v[12:13], off scope:SCOPE_DEV
	s_wait_loadcnt 0x0
	v_cmp_ne_u32_e32 vcc_lo, 0, v9
	s_or_b32 s14, vcc_lo, s14
	s_wait_xcnt 0x0
	s_and_not1_b32 exec_lo, exec_lo, s14
	s_cbranch_execnz .LBB23_35
; %bb.36:                               ;   in Loop: Header=BB23_34 Depth=1
	s_or_b32 exec_lo, exec_lo, s14
	v_subrev_nc_u32_e32 v9, s28, v20
	v_cmp_eq_u32_e32 vcc_lo, -1, v19
	global_inv scope:SCOPE_DEV
	s_mov_b32 s15, -1
	s_mov_b32 s14, exec_lo
	v_add_nc_u32_e32 v12, -1, v9
	s_delay_alu instid0(VALU_DEP_1)
	v_cndmask_b32_e32 v19, v19, v12, vcc_lo
	global_load_b64 v[12:13], v19, s[8:9] scale_offset
	s_wait_loadcnt 0x0
	s_wait_xcnt 0x0
	v_cmpx_neq_f64_e32 0, v[12:13]
	s_cbranch_execz .LBB23_33
; %bb.37:                               ;   in Loop: Header=BB23_34 Depth=1
	v_div_scale_f64 v[20:21], null, v[12:13], v[12:13], v[10:11]
	s_mov_b32 s15, exec_lo
	v_rcp_f64_e32 v[22:23], v[20:21]
	v_nop
	s_delay_alu instid0(TRANS32_DEP_1) | instskip(NEXT) | instid1(VALU_DEP_1)
	v_fma_f64 v[24:25], -v[20:21], v[22:23], 1.0
	v_fmac_f64_e32 v[22:23], v[22:23], v[24:25]
	s_delay_alu instid0(VALU_DEP_1) | instskip(NEXT) | instid1(VALU_DEP_1)
	v_fma_f64 v[24:25], -v[20:21], v[22:23], 1.0
	v_fmac_f64_e32 v[22:23], v[22:23], v[24:25]
	v_div_scale_f64 v[24:25], vcc_lo, v[10:11], v[12:13], v[10:11]
	s_delay_alu instid0(VALU_DEP_1) | instskip(NEXT) | instid1(VALU_DEP_1)
	v_mul_f64_e32 v[26:27], v[24:25], v[22:23]
	v_fma_f64 v[20:21], -v[20:21], v[26:27], v[24:25]
	s_delay_alu instid0(VALU_DEP_1) | instskip(NEXT) | instid1(VALU_DEP_1)
	v_div_fmas_f64 v[20:21], v[20:21], v[22:23], v[26:27]
	v_div_fixup_f64 v[10:11], v[20:21], v[12:13], v[10:11]
	v_add_nc_u32_e32 v12, v18, v19
	global_store_b64 v[14:15], v[10:11], off
	s_wait_xcnt 0x0
	v_cmpx_lt_i32_e64 v12, v9
	s_cbranch_execz .LBB23_32
; %bb.38:                               ;   in Loop: Header=BB23_34 Depth=1
	s_mov_b32 s22, 0
	s_branch .LBB23_40
.LBB23_39:                              ;   in Loop: Header=BB23_40 Depth=2
	s_wait_xcnt 0x0
	s_or_b32 exec_lo, exec_lo, s23
	v_add_nc_u32_e32 v12, 64, v12
	s_delay_alu instid0(VALU_DEP_1) | instskip(SKIP_1) | instid1(SALU_CYCLE_1)
	v_cmp_ge_i32_e32 vcc_lo, v12, v9
	s_or_b32 s22, vcc_lo, s22
	s_and_not1_b32 exec_lo, exec_lo, s22
	s_cbranch_execz .LBB23_32
.LBB23_40:                              ;   Parent Loop BB23_34 Depth=1
                                        ; =>  This Loop Header: Depth=2
                                        ;       Child Loop BB23_49 Depth 3
	global_load_b32 v14, v12, s[6:7] scale_offset
	v_ashrrev_i32_e32 v13, 31, v12
	v_mov_b32_e32 v15, 0x200
	s_mov_b32 s23, 0
                                        ; implicit-def: $sgpr24
                                        ; implicit-def: $sgpr25
                                        ; implicit-def: $sgpr26
	s_wait_loadcnt 0x0
	v_mul_lo_u32 v20, 0x67, v14
	s_branch .LBB23_49
.LBB23_41:                              ;   in Loop: Header=BB23_49 Depth=3
	s_or_b32 exec_lo, exec_lo, s40
	s_delay_alu instid0(SALU_CYCLE_1)
	s_or_not1_b32 s38, s38, exec_lo
	s_or_not1_b32 s39, s39, exec_lo
.LBB23_42:                              ;   in Loop: Header=BB23_49 Depth=3
	s_or_b32 exec_lo, exec_lo, s37
	s_delay_alu instid0(SALU_CYCLE_1)
	s_and_b32 s38, s38, exec_lo
	s_or_not1_b32 s37, s39, exec_lo
.LBB23_43:                              ;   in Loop: Header=BB23_49 Depth=3
	s_or_b32 exec_lo, exec_lo, s36
	s_delay_alu instid0(SALU_CYCLE_1)
	s_or_not1_b32 s36, s38, exec_lo
	s_or_not1_b32 s37, s37, exec_lo
.LBB23_44:                              ;   in Loop: Header=BB23_49 Depth=3
	s_or_b32 exec_lo, exec_lo, s35
	s_delay_alu instid0(SALU_CYCLE_1)
	s_and_b32 s36, s36, exec_lo
	s_or_not1_b32 s35, s37, exec_lo
.LBB23_45:                              ;   in Loop: Header=BB23_49 Depth=3
	s_or_b32 exec_lo, exec_lo, s34
	s_delay_alu instid0(SALU_CYCLE_1)
	s_or_not1_b32 s34, s36, exec_lo
	s_or_not1_b32 s35, s35, exec_lo
.LBB23_46:                              ;   in Loop: Header=BB23_49 Depth=3
	s_or_b32 exec_lo, exec_lo, s33
	s_delay_alu instid0(SALU_CYCLE_1)
	s_and_b32 s34, s34, exec_lo
	s_or_not1_b32 s33, s35, exec_lo
.LBB23_47:                              ;   in Loop: Header=BB23_49 Depth=3
	s_or_b32 exec_lo, exec_lo, s31
	s_delay_alu instid0(SALU_CYCLE_1)
	s_and_not1_b32 s26, s26, exec_lo
	s_and_b32 s31, s34, exec_lo
	s_and_not1_b32 s25, s25, exec_lo
	s_and_b32 s33, s33, exec_lo
	s_or_b32 s26, s26, s31
	s_or_b32 s25, s25, s33
.LBB23_48:                              ;   in Loop: Header=BB23_49 Depth=3
	s_or_b32 exec_lo, exec_lo, s27
	s_delay_alu instid0(SALU_CYCLE_1) | instskip(NEXT) | instid1(SALU_CYCLE_1)
	s_and_b32 s27, exec_lo, s25
	s_or_b32 s23, s27, s23
	s_and_not1_b32 s24, s24, exec_lo
	s_and_b32 s27, s26, exec_lo
	s_delay_alu instid0(SALU_CYCLE_1)
	s_or_b32 s24, s24, s27
	s_and_not1_b32 exec_lo, exec_lo, s23
	s_cbranch_execz .LBB23_58
.LBB23_49:                              ;   Parent Loop BB23_34 Depth=1
                                        ;     Parent Loop BB23_40 Depth=2
                                        ; =>    This Inner Loop Header: Depth=3
	s_delay_alu instid0(VALU_DEP_1) | instskip(SKIP_3) | instid1(VALU_DEP_1)
	v_and_b32_e32 v19, 0x1ff, v20
	s_or_b32 s26, s26, exec_lo
	s_or_b32 s25, s25, exec_lo
	s_mov_b32 s27, exec_lo
	v_lshl_add_u32 v21, v19, 2, v7
	ds_load_b32 v21, v21
	s_wait_dscnt 0x0
	s_wait_xcnt 0x0
	v_cmpx_ne_u32_e32 -1, v21
	s_cbranch_execz .LBB23_48
; %bb.50:                               ;   in Loop: Header=BB23_49 Depth=3
	s_mov_b32 s33, -1
	s_mov_b32 s34, 0
	s_mov_b32 s31, exec_lo
	v_cmpx_ne_u32_e64 v21, v14
	s_cbranch_execz .LBB23_47
; %bb.51:                               ;   in Loop: Header=BB23_49 Depth=3
	v_add_nc_u32_e32 v19, 1, v20
	s_mov_b32 s35, -1
	s_mov_b32 s34, -1
	s_mov_b32 s33, exec_lo
	s_delay_alu instid0(VALU_DEP_1) | instskip(NEXT) | instid1(VALU_DEP_1)
	v_and_b32_e32 v19, 0x1ff, v19
	v_lshl_add_u32 v21, v19, 2, v7
	ds_load_b32 v21, v21
	s_wait_dscnt 0x0
	v_cmpx_ne_u32_e32 -1, v21
	s_cbranch_execz .LBB23_46
; %bb.52:                               ;   in Loop: Header=BB23_49 Depth=3
	s_mov_b32 s36, 0
	s_mov_b32 s34, exec_lo
	v_cmpx_ne_u32_e64 v21, v14
	s_cbranch_execz .LBB23_45
; %bb.53:                               ;   in Loop: Header=BB23_49 Depth=3
	v_add_nc_u32_e32 v19, 2, v20
	s_mov_b32 s37, -1
	s_mov_b32 s36, -1
	s_mov_b32 s35, exec_lo
	s_delay_alu instid0(VALU_DEP_1) | instskip(NEXT) | instid1(VALU_DEP_1)
	v_and_b32_e32 v19, 0x1ff, v19
	v_lshl_add_u32 v21, v19, 2, v7
	ds_load_b32 v21, v21
	s_wait_dscnt 0x0
	v_cmpx_ne_u32_e32 -1, v21
	s_cbranch_execz .LBB23_44
; %bb.54:                               ;   in Loop: Header=BB23_49 Depth=3
	s_mov_b32 s38, 0
	s_mov_b32 s36, exec_lo
	v_cmpx_ne_u32_e64 v21, v14
	s_cbranch_execz .LBB23_43
; %bb.55:                               ;   in Loop: Header=BB23_49 Depth=3
	v_add_nc_u32_e32 v19, 3, v20
	s_mov_b32 s39, -1
	s_mov_b32 s38, -1
	s_mov_b32 s37, exec_lo
	s_delay_alu instid0(VALU_DEP_1) | instskip(NEXT) | instid1(VALU_DEP_1)
	v_and_b32_e32 v19, 0x1ff, v19
	v_lshl_add_u32 v20, v19, 2, v7
	ds_load_b32 v21, v20
                                        ; implicit-def: $vgpr20
	s_wait_dscnt 0x0
	v_cmpx_ne_u32_e32 -1, v21
	s_cbranch_execz .LBB23_42
; %bb.56:                               ;   in Loop: Header=BB23_49 Depth=3
	s_mov_b32 s38, 0
	s_mov_b32 s40, exec_lo
                                        ; implicit-def: $vgpr20
	v_cmpx_ne_u32_e64 v21, v14
	s_cbranch_execz .LBB23_41
; %bb.57:                               ;   in Loop: Header=BB23_49 Depth=3
	v_add_nc_u32_e32 v15, -4, v15
	v_add_nc_u32_e32 v20, 1, v19
	s_mov_b32 s38, exec_lo
	s_delay_alu instid0(VALU_DEP_2)
	v_cmp_eq_u32_e32 vcc_lo, 0, v15
	s_or_not1_b32 s39, vcc_lo, exec_lo
	s_branch .LBB23_41
.LBB23_58:                              ;   in Loop: Header=BB23_40 Depth=2
	s_or_b32 exec_lo, exec_lo, s23
	s_xor_b32 s23, s24, -1
	s_delay_alu instid0(SALU_CYCLE_1) | instskip(NEXT) | instid1(SALU_CYCLE_1)
	s_and_saveexec_b32 s24, s23
	s_xor_b32 s23, exec_lo, s24
	s_cbranch_execz .LBB23_39
; %bb.59:                               ;   in Loop: Header=BB23_40 Depth=2
	v_lshl_add_u32 v14, v19, 2, v17
	ds_load_b32 v19, v14
	v_lshl_add_u64 v[14:15], v[12:13], 3, s[8:9]
	global_load_b64 v[20:21], v[14:15], off
	s_wait_dscnt 0x0
	global_load_b64 v[22:23], v19, s[8:9] scale_offset
	s_wait_loadcnt 0x0
	s_wait_xcnt 0x1
	v_fma_f64 v[14:15], -v[10:11], v[20:21], v[22:23]
	global_store_b64 v19, v[14:15], s[8:9] scale_offset
	s_branch .LBB23_39
.LBB23_60:
	s_or_b32 exec_lo, exec_lo, s2
	s_mov_b32 s4, -1
	s_mov_b32 s3, exec_lo
	s_wait_storecnt 0x0
	v_cmpx_lt_i32_e32 -1, v6
	s_cbranch_execz .LBB23_76
; %bb.61:
	global_load_b64 v[8:9], v6, s[8:9] scale_offset
	v_cmp_eq_u32_e64 s2, 0, v16
	s_wait_loadcnt 0x0
	v_cmp_gt_f64_e32 vcc_lo, 0, v[8:9]
	v_xor_b32_e32 v7, 0x80000000, v9
	s_delay_alu instid0(VALU_DEP_1)
	v_dual_mov_b32 v10, v8 :: v_dual_cndmask_b32 v11, v9, v7
	s_and_not1_b32 vcc_lo, exec_lo, s29
	s_cbranch_vccnz .LBB23_65
; %bb.62:
	v_cvt_f64_f32_e32 v[12:13], s30
	s_cmp_eq_u64 s[20:21], 8
	s_cselect_b32 vcc_lo, -1, 0
	s_delay_alu instid0(VALU_DEP_1) | instskip(NEXT) | instid1(VALU_DEP_1)
	v_dual_cndmask_b32 v3, v13, v3 :: v_dual_cndmask_b32 v2, v12, v2
	v_cmp_le_f64_e32 vcc_lo, v[10:11], v[2:3]
	s_and_b32 s5, s2, vcc_lo
	s_delay_alu instid0(SALU_CYCLE_1)
	s_and_saveexec_b32 s4, s5
	s_cbranch_execz .LBB23_64
; %bb.63:
	v_mov_b32_e32 v7, 0
	s_delay_alu instid0(VALU_DEP_1)
	v_lshl_add_u64 v[2:3], v[6:7], 3, s[8:9]
	global_store_b64 v[2:3], v[4:5], off
	global_wb scope:SCOPE_DEV
	s_wait_storecnt 0x0
	global_inv scope:SCOPE_DEV
.LBB23_64:
	s_wait_xcnt 0x0
	s_or_b32 exec_lo, exec_lo, s4
	s_mov_b32 s4, 0
.LBB23_65:
	s_delay_alu instid0(SALU_CYCLE_1)
	s_and_not1_b32 vcc_lo, exec_lo, s4
	s_cbranch_vccnz .LBB23_76
; %bb.66:
	s_load_b64 s[0:1], s[0:1], 0x48
	v_add_nc_u32_e32 v2, s28, v0
	s_wait_kmcnt 0x0
	v_cmp_ge_f64_e32 vcc_lo, s[0:1], v[10:11]
	s_and_b32 s1, s2, vcc_lo
	s_delay_alu instid0(SALU_CYCLE_1)
	s_and_saveexec_b32 s0, s1
	s_cbranch_execz .LBB23_71
; %bb.67:
	s_mov_b32 s4, exec_lo
	s_brev_b32 s1, -2
.LBB23_68:                              ; =>This Inner Loop Header: Depth=1
	s_ctz_i32_b32 s5, s4
	s_delay_alu instid0(SALU_CYCLE_1) | instskip(SKIP_1) | instid1(SALU_CYCLE_1)
	v_readlane_b32 s6, v2, s5
	s_lshl_b32 s5, 1, s5
	s_and_not1_b32 s4, s4, s5
	s_min_i32 s1, s1, s6
	s_cmp_lg_u32 s4, 0
	s_cbranch_scc1 .LBB23_68
; %bb.69:
	v_mbcnt_lo_u32_b32 v3, exec_lo, 0
	s_mov_b32 s4, exec_lo
	s_delay_alu instid0(VALU_DEP_1)
	v_cmpx_eq_u32_e32 0, v3
	s_xor_b32 s4, exec_lo, s4
	s_cbranch_execz .LBB23_71
; %bb.70:
	v_dual_mov_b32 v3, 0 :: v_dual_mov_b32 v4, s1
	global_atomic_min_i32 v3, v4, s[18:19] scope:SCOPE_DEV
.LBB23_71:
	s_wait_xcnt 0x0
	s_or_b32 exec_lo, exec_lo, s0
	v_cmp_eq_f64_e32 vcc_lo, 0, v[8:9]
	s_and_b32 s0, s2, vcc_lo
	s_delay_alu instid0(SALU_CYCLE_1)
	s_and_b32 exec_lo, exec_lo, s0
	s_cbranch_execz .LBB23_76
; %bb.72:
	s_mov_b32 s1, exec_lo
	s_brev_b32 s0, -2
.LBB23_73:                              ; =>This Inner Loop Header: Depth=1
	s_ctz_i32_b32 s2, s1
	s_delay_alu instid0(SALU_CYCLE_1) | instskip(SKIP_1) | instid1(SALU_CYCLE_1)
	v_readlane_b32 s4, v2, s2
	s_lshl_b32 s2, 1, s2
	s_and_not1_b32 s1, s1, s2
	s_min_i32 s0, s0, s4
	s_cmp_lg_u32 s1, 0
	s_cbranch_scc1 .LBB23_73
; %bb.74:
	v_mbcnt_lo_u32_b32 v2, exec_lo, 0
	s_mov_b32 s1, exec_lo
	s_delay_alu instid0(VALU_DEP_1)
	v_cmpx_eq_u32_e32 0, v2
	s_xor_b32 s1, exec_lo, s1
	s_cbranch_execz .LBB23_76
; %bb.75:
	v_dual_mov_b32 v2, 0 :: v_dual_mov_b32 v3, s0
	global_atomic_min_i32 v2, v3, s[16:17] scope:SCOPE_DEV
.LBB23_76:
	s_wait_xcnt 0x0
	s_or_b32 exec_lo, exec_lo, s3
	v_cmp_eq_u32_e32 vcc_lo, 0, v16
	global_wb scope:SCOPE_DEV
	s_wait_loadcnt 0x0
	s_wait_storecnt 0x0
	global_inv scope:SCOPE_DEV
	s_and_b32 exec_lo, exec_lo, vcc_lo
	s_cbranch_execz .LBB23_78
; %bb.77:
	v_lshl_add_u64 v[0:1], v[0:1], 2, s[12:13]
	v_mov_b32_e32 v2, 1
	global_wb scope:SCOPE_DEV
	s_wait_loadcnt 0x0
	s_wait_storecnt 0x0
	global_store_b32 v[0:1], v2, off scope:SCOPE_DEV
.LBB23_78:
	s_endpgm
	.section	.rodata,"a",@progbits
	.p2align	6, 0x0
	.amdhsa_kernel _ZN9rocsparseL12csrilu0_hashILj256ELj64ELj8EdEEviPKiS2_PT2_S2_PiS2_S5_S5_d21rocsparse_index_base_imNS_24const_host_device_scalarIfEENS7_IdEENS7_IS3_EEb
		.amdhsa_group_segment_fixed_size 16384
		.amdhsa_private_segment_fixed_size 0
		.amdhsa_kernarg_size 124
		.amdhsa_user_sgpr_count 2
		.amdhsa_user_sgpr_dispatch_ptr 0
		.amdhsa_user_sgpr_queue_ptr 0
		.amdhsa_user_sgpr_kernarg_segment_ptr 1
		.amdhsa_user_sgpr_dispatch_id 0
		.amdhsa_user_sgpr_kernarg_preload_length 0
		.amdhsa_user_sgpr_kernarg_preload_offset 0
		.amdhsa_user_sgpr_private_segment_size 0
		.amdhsa_wavefront_size32 1
		.amdhsa_uses_dynamic_stack 0
		.amdhsa_enable_private_segment 0
		.amdhsa_system_sgpr_workgroup_id_x 1
		.amdhsa_system_sgpr_workgroup_id_y 0
		.amdhsa_system_sgpr_workgroup_id_z 0
		.amdhsa_system_sgpr_workgroup_info 0
		.amdhsa_system_vgpr_workitem_id 0
		.amdhsa_next_free_vgpr 28
		.amdhsa_next_free_sgpr 41
		.amdhsa_named_barrier_count 0
		.amdhsa_reserve_vcc 1
		.amdhsa_float_round_mode_32 0
		.amdhsa_float_round_mode_16_64 0
		.amdhsa_float_denorm_mode_32 3
		.amdhsa_float_denorm_mode_16_64 3
		.amdhsa_fp16_overflow 0
		.amdhsa_memory_ordered 1
		.amdhsa_forward_progress 1
		.amdhsa_inst_pref_size 23
		.amdhsa_round_robin_scheduling 0
		.amdhsa_exception_fp_ieee_invalid_op 0
		.amdhsa_exception_fp_denorm_src 0
		.amdhsa_exception_fp_ieee_div_zero 0
		.amdhsa_exception_fp_ieee_overflow 0
		.amdhsa_exception_fp_ieee_underflow 0
		.amdhsa_exception_fp_ieee_inexact 0
		.amdhsa_exception_int_div_zero 0
	.end_amdhsa_kernel
	.section	.text._ZN9rocsparseL12csrilu0_hashILj256ELj64ELj8EdEEviPKiS2_PT2_S2_PiS2_S5_S5_d21rocsparse_index_base_imNS_24const_host_device_scalarIfEENS7_IdEENS7_IS3_EEb,"axG",@progbits,_ZN9rocsparseL12csrilu0_hashILj256ELj64ELj8EdEEviPKiS2_PT2_S2_PiS2_S5_S5_d21rocsparse_index_base_imNS_24const_host_device_scalarIfEENS7_IdEENS7_IS3_EEb,comdat
.Lfunc_end23:
	.size	_ZN9rocsparseL12csrilu0_hashILj256ELj64ELj8EdEEviPKiS2_PT2_S2_PiS2_S5_S5_d21rocsparse_index_base_imNS_24const_host_device_scalarIfEENS7_IdEENS7_IS3_EEb, .Lfunc_end23-_ZN9rocsparseL12csrilu0_hashILj256ELj64ELj8EdEEviPKiS2_PT2_S2_PiS2_S5_S5_d21rocsparse_index_base_imNS_24const_host_device_scalarIfEENS7_IdEENS7_IS3_EEb
                                        ; -- End function
	.set _ZN9rocsparseL12csrilu0_hashILj256ELj64ELj8EdEEviPKiS2_PT2_S2_PiS2_S5_S5_d21rocsparse_index_base_imNS_24const_host_device_scalarIfEENS7_IdEENS7_IS3_EEb.num_vgpr, 28
	.set _ZN9rocsparseL12csrilu0_hashILj256ELj64ELj8EdEEviPKiS2_PT2_S2_PiS2_S5_S5_d21rocsparse_index_base_imNS_24const_host_device_scalarIfEENS7_IdEENS7_IS3_EEb.num_agpr, 0
	.set _ZN9rocsparseL12csrilu0_hashILj256ELj64ELj8EdEEviPKiS2_PT2_S2_PiS2_S5_S5_d21rocsparse_index_base_imNS_24const_host_device_scalarIfEENS7_IdEENS7_IS3_EEb.numbered_sgpr, 41
	.set _ZN9rocsparseL12csrilu0_hashILj256ELj64ELj8EdEEviPKiS2_PT2_S2_PiS2_S5_S5_d21rocsparse_index_base_imNS_24const_host_device_scalarIfEENS7_IdEENS7_IS3_EEb.num_named_barrier, 0
	.set _ZN9rocsparseL12csrilu0_hashILj256ELj64ELj8EdEEviPKiS2_PT2_S2_PiS2_S5_S5_d21rocsparse_index_base_imNS_24const_host_device_scalarIfEENS7_IdEENS7_IS3_EEb.private_seg_size, 0
	.set _ZN9rocsparseL12csrilu0_hashILj256ELj64ELj8EdEEviPKiS2_PT2_S2_PiS2_S5_S5_d21rocsparse_index_base_imNS_24const_host_device_scalarIfEENS7_IdEENS7_IS3_EEb.uses_vcc, 1
	.set _ZN9rocsparseL12csrilu0_hashILj256ELj64ELj8EdEEviPKiS2_PT2_S2_PiS2_S5_S5_d21rocsparse_index_base_imNS_24const_host_device_scalarIfEENS7_IdEENS7_IS3_EEb.uses_flat_scratch, 0
	.set _ZN9rocsparseL12csrilu0_hashILj256ELj64ELj8EdEEviPKiS2_PT2_S2_PiS2_S5_S5_d21rocsparse_index_base_imNS_24const_host_device_scalarIfEENS7_IdEENS7_IS3_EEb.has_dyn_sized_stack, 0
	.set _ZN9rocsparseL12csrilu0_hashILj256ELj64ELj8EdEEviPKiS2_PT2_S2_PiS2_S5_S5_d21rocsparse_index_base_imNS_24const_host_device_scalarIfEENS7_IdEENS7_IS3_EEb.has_recursion, 0
	.set _ZN9rocsparseL12csrilu0_hashILj256ELj64ELj8EdEEviPKiS2_PT2_S2_PiS2_S5_S5_d21rocsparse_index_base_imNS_24const_host_device_scalarIfEENS7_IdEENS7_IS3_EEb.has_indirect_call, 0
	.section	.AMDGPU.csdata,"",@progbits
; Kernel info:
; codeLenInByte = 2828
; TotalNumSgprs: 43
; NumVgprs: 28
; ScratchSize: 0
; MemoryBound: 0
; FloatMode: 240
; IeeeMode: 1
; LDSByteSize: 16384 bytes/workgroup (compile time only)
; SGPRBlocks: 0
; VGPRBlocks: 1
; NumSGPRsForWavesPerEU: 43
; NumVGPRsForWavesPerEU: 28
; NamedBarCnt: 0
; Occupancy: 16
; WaveLimiterHint : 1
; COMPUTE_PGM_RSRC2:SCRATCH_EN: 0
; COMPUTE_PGM_RSRC2:USER_SGPR: 2
; COMPUTE_PGM_RSRC2:TRAP_HANDLER: 0
; COMPUTE_PGM_RSRC2:TGID_X_EN: 1
; COMPUTE_PGM_RSRC2:TGID_Y_EN: 0
; COMPUTE_PGM_RSRC2:TGID_Z_EN: 0
; COMPUTE_PGM_RSRC2:TIDIG_COMP_CNT: 0
	.section	.text._ZN9rocsparseL12csrilu0_hashILj256ELj64ELj16EdEEviPKiS2_PT2_S2_PiS2_S5_S5_d21rocsparse_index_base_imNS_24const_host_device_scalarIfEENS7_IdEENS7_IS3_EEb,"axG",@progbits,_ZN9rocsparseL12csrilu0_hashILj256ELj64ELj16EdEEviPKiS2_PT2_S2_PiS2_S5_S5_d21rocsparse_index_base_imNS_24const_host_device_scalarIfEENS7_IdEENS7_IS3_EEb,comdat
	.globl	_ZN9rocsparseL12csrilu0_hashILj256ELj64ELj16EdEEviPKiS2_PT2_S2_PiS2_S5_S5_d21rocsparse_index_base_imNS_24const_host_device_scalarIfEENS7_IdEENS7_IS3_EEb ; -- Begin function _ZN9rocsparseL12csrilu0_hashILj256ELj64ELj16EdEEviPKiS2_PT2_S2_PiS2_S5_S5_d21rocsparse_index_base_imNS_24const_host_device_scalarIfEENS7_IdEENS7_IS3_EEb
	.p2align	8
	.type	_ZN9rocsparseL12csrilu0_hashILj256ELj64ELj16EdEEviPKiS2_PT2_S2_PiS2_S5_S5_d21rocsparse_index_base_imNS_24const_host_device_scalarIfEENS7_IdEENS7_IS3_EEb,@function
_ZN9rocsparseL12csrilu0_hashILj256ELj64ELj16EdEEviPKiS2_PT2_S2_PiS2_S5_S5_d21rocsparse_index_base_imNS_24const_host_device_scalarIfEENS7_IdEENS7_IS3_EEb: ; @_ZN9rocsparseL12csrilu0_hashILj256ELj64ELj16EdEEviPKiS2_PT2_S2_PiS2_S5_S5_d21rocsparse_index_base_imNS_24const_host_device_scalarIfEENS7_IdEENS7_IS3_EEb
; %bb.0:
	s_clause 0x2
	s_load_b32 s2, s[0:1], 0x78
	s_load_b64 s[28:29], s[0:1], 0x50
	s_load_b256 s[20:27], s[0:1], 0x58
	s_wait_kmcnt 0x0
	s_bitcmp1_b32 s2, 0
	s_cselect_b32 s2, -1, 0
	s_cmp_eq_u32 s29, 0
	s_cselect_b32 s4, -1, 0
	s_cmp_lg_u32 s29, 0
	s_cselect_b32 s29, -1, 0
	s_or_b32 s6, s4, s2
	s_delay_alu instid0(SALU_CYCLE_1)
	s_xor_b32 s5, s6, -1
	s_and_b32 s2, s4, exec_lo
	s_cselect_b32 s3, 0, s25
	s_cselect_b32 s2, 0, s24
	;; [unrolled: 1-line block ×3, first 2 shown]
	s_and_b32 vcc_lo, exec_lo, s6
	s_cbranch_vccnz .LBB24_2
; %bb.1:
	s_load_b32 s30, s[22:23], 0x0
	s_mov_b64 s[2:3], s[24:25]
.LBB24_2:
	s_delay_alu instid0(SALU_CYCLE_1)
	v_mov_b64_e32 v[4:5], s[2:3]
	v_cndmask_b32_e64 v1, 0, 1, s5
	s_and_not1_b32 vcc_lo, exec_lo, s5
	s_cbranch_vccnz .LBB24_4
; %bb.3:
	v_mov_b32_e32 v2, 0
	flat_load_b64 v[4:5], v2, s[24:25]
.LBB24_4:
	s_and_b32 s2, s4, exec_lo
	s_cselect_b32 s3, 0, s27
	s_cselect_b32 s2, 0, s26
	v_cmp_ne_u32_e32 vcc_lo, 1, v1
	v_mov_b64_e32 v[6:7], s[2:3]
	s_mov_b32 s2, 0
	s_cbranch_vccnz .LBB24_6
; %bb.5:
	v_mov_b32_e32 v1, 0
	flat_load_b64 v[6:7], v1, s[26:27]
.LBB24_6:
	s_wait_xcnt 0x0
	v_dual_lshrrev_b32 v1, 6, v0 :: v_dual_bitop2_b32 v16, 63, v0 bitop3:0x40
	s_delay_alu instid0(VALU_DEP_1) | instskip(SKIP_1) | instid1(VALU_DEP_2)
	v_dual_lshlrev_b32 v3, 12, v1 :: v_dual_lshlrev_b32 v8, 2, v16
	v_or_b32_e32 v2, 0xffffffc0, v16
	v_or3_b32 v3, v3, v8, 0x4000
	v_mov_b32_e32 v8, -1
.LBB24_7:                               ; =>This Inner Loop Header: Depth=1
	s_delay_alu instid0(VALU_DEP_3) | instskip(SKIP_4) | instid1(SALU_CYCLE_1)
	v_add_nc_u32_e32 v2, 64, v2
	ds_store_b32 v3, v8
	v_add_nc_u32_e32 v3, 0x100, v3
	v_cmp_lt_u32_e32 vcc_lo, 0x3bf, v2
	s_or_b32 s2, vcc_lo, s2
	s_and_not1_b32 exec_lo, exec_lo, s2
	s_cbranch_execnz .LBB24_7
; %bb.8:
	s_or_b32 exec_lo, exec_lo, s2
	s_load_b32 s2, s[0:1], 0x0
	s_bfe_u32 s3, ttmp6, 0x4000c
	s_and_b32 s4, ttmp6, 15
	s_add_co_i32 s3, s3, 1
	s_getreg_b32 s5, hwreg(HW_REG_IB_STS2, 6, 4)
	s_mul_i32 s3, ttmp9, s3
	s_wait_loadcnt_dscnt 0x0
	s_add_co_i32 s4, s4, s3
	s_cmp_eq_u32 s5, 0
	s_cselect_b32 s3, ttmp9, s4
	s_delay_alu instid0(SALU_CYCLE_1) | instskip(NEXT) | instid1(SALU_CYCLE_1)
	s_lshl_b32 s3, s3, 2
	v_and_or_b32 v1, 0x3fffffc, s3, v1
	s_wait_kmcnt 0x0
	s_delay_alu instid0(VALU_DEP_1)
	v_cmp_gt_i32_e32 vcc_lo, s2, v1
	s_and_saveexec_b32 s2, vcc_lo
	s_cbranch_execz .LBB24_80
; %bb.9:
	s_load_b512 s[4:19], s[0:1], 0x8
	s_mov_b32 s2, exec_lo
	s_wait_kmcnt 0x0
	global_load_b32 v2, v1, s[14:15] scale_offset
	s_wait_xcnt 0x0
	v_lshlrev_b32_e32 v1, 6, v0
	s_delay_alu instid0(VALU_DEP_1) | instskip(NEXT) | instid1(VALU_DEP_1)
	v_and_b32_e32 v9, 0x3000, v1
	v_or_b32_e32 v17, 0x4000, v9
	s_wait_loadcnt 0x0
	v_ashrrev_i32_e32 v3, 31, v2
	s_delay_alu instid0(VALU_DEP_1)
	v_lshl_add_u64 v[10:11], v[2:3], 2, s[4:5]
	global_load_b64 v[12:13], v[10:11], off
	global_load_b32 v8, v2, s[10:11] scale_offset
	s_wait_loadcnt 0x1
	v_subrev_nc_u32_e32 v0, s28, v12
	v_subrev_nc_u32_e32 v1, s28, v13
	s_delay_alu instid0(VALU_DEP_2) | instskip(SKIP_1) | instid1(VALU_DEP_1)
	v_add_nc_u32_e32 v10, v0, v16
	s_wait_xcnt 0x0
	v_cmpx_lt_i32_e64 v10, v1
	s_cbranch_execz .LBB24_32
; %bb.10:
	v_mov_b32_e32 v11, -1
	s_mov_b32 s3, 0
	s_branch .LBB24_12
.LBB24_11:                              ;   in Loop: Header=BB24_12 Depth=1
	s_or_b32 exec_lo, exec_lo, s14
	v_add_nc_u32_e32 v10, 64, v10
	s_delay_alu instid0(VALU_DEP_1) | instskip(SKIP_1) | instid1(SALU_CYCLE_1)
	v_cmp_ge_i32_e32 vcc_lo, v10, v1
	s_or_b32 s3, vcc_lo, s3
	s_and_not1_b32 exec_lo, exec_lo, s3
	s_cbranch_execz .LBB24_32
.LBB24_12:                              ; =>This Loop Header: Depth=1
                                        ;     Child Loop BB24_21 Depth 2
	global_load_b32 v12, v10, s[6:7] scale_offset
	v_mov_b32_e32 v13, 0x400
	s_mov_b32 s14, 0
                                        ; implicit-def: $sgpr15
                                        ; implicit-def: $sgpr22
                                        ; implicit-def: $sgpr23
	s_wait_loadcnt 0x0
	v_mul_lo_u32 v15, 0x67, v12
	s_branch .LBB24_21
.LBB24_13:                              ;   in Loop: Header=BB24_21 Depth=2
	s_or_b32 exec_lo, exec_lo, s37
	s_delay_alu instid0(SALU_CYCLE_1)
	s_or_not1_b32 s35, s35, exec_lo
	s_or_not1_b32 s36, s36, exec_lo
.LBB24_14:                              ;   in Loop: Header=BB24_21 Depth=2
	s_or_b32 exec_lo, exec_lo, s34
	s_delay_alu instid0(SALU_CYCLE_1)
	s_and_b32 s35, s35, exec_lo
	s_or_not1_b32 s34, s36, exec_lo
.LBB24_15:                              ;   in Loop: Header=BB24_21 Depth=2
	s_or_b32 exec_lo, exec_lo, s33
	s_delay_alu instid0(SALU_CYCLE_1)
	s_or_not1_b32 s33, s35, exec_lo
	s_or_not1_b32 s34, s34, exec_lo
.LBB24_16:                              ;   in Loop: Header=BB24_21 Depth=2
	s_or_b32 exec_lo, exec_lo, s31
	s_delay_alu instid0(SALU_CYCLE_1)
	s_and_b32 s33, s33, exec_lo
	s_or_not1_b32 s31, s34, exec_lo
.LBB24_17:                              ;   in Loop: Header=BB24_21 Depth=2
	s_or_b32 exec_lo, exec_lo, s27
	s_delay_alu instid0(SALU_CYCLE_1)
	s_or_not1_b32 s27, s33, exec_lo
	s_or_not1_b32 s31, s31, exec_lo
.LBB24_18:                              ;   in Loop: Header=BB24_21 Depth=2
	s_or_b32 exec_lo, exec_lo, s26
	s_delay_alu instid0(SALU_CYCLE_1)
	s_and_b32 s27, s27, exec_lo
	s_or_not1_b32 s26, s31, exec_lo
.LBB24_19:                              ;   in Loop: Header=BB24_21 Depth=2
	s_or_b32 exec_lo, exec_lo, s25
	s_delay_alu instid0(SALU_CYCLE_1)
	s_and_not1_b32 s23, s23, exec_lo
	s_and_b32 s25, s27, exec_lo
	s_and_not1_b32 s22, s22, exec_lo
	s_and_b32 s26, s26, exec_lo
	s_or_b32 s23, s23, s25
	s_or_b32 s22, s22, s26
.LBB24_20:                              ;   in Loop: Header=BB24_21 Depth=2
	s_or_b32 exec_lo, exec_lo, s24
	s_delay_alu instid0(SALU_CYCLE_1) | instskip(NEXT) | instid1(SALU_CYCLE_1)
	s_and_b32 s24, exec_lo, s22
	s_or_b32 s14, s24, s14
	s_and_not1_b32 s15, s15, exec_lo
	s_and_b32 s24, s23, exec_lo
	s_delay_alu instid0(SALU_CYCLE_1)
	s_or_b32 s15, s15, s24
	s_and_not1_b32 exec_lo, exec_lo, s14
	s_cbranch_execz .LBB24_30
.LBB24_21:                              ;   Parent Loop BB24_12 Depth=1
                                        ; =>  This Inner Loop Header: Depth=2
	s_delay_alu instid0(VALU_DEP_1) | instskip(SKIP_3) | instid1(VALU_DEP_1)
	v_and_b32_e32 v14, 0x3ff, v15
	s_or_b32 s23, s23, exec_lo
	s_or_b32 s22, s22, exec_lo
	s_mov_b32 s24, exec_lo
	v_lshl_add_u32 v18, v14, 2, v17
	ds_load_b32 v19, v18
	s_wait_dscnt 0x0
	s_wait_xcnt 0x0
	v_cmpx_ne_u32_e64 v19, v12
	s_cbranch_execz .LBB24_20
; %bb.22:                               ;   in Loop: Header=BB24_21 Depth=2
	ds_cmpstore_rtn_b32 v18, v18, v12, v11
	s_mov_b32 s26, -1
	s_mov_b32 s27, 0
	s_mov_b32 s25, exec_lo
	s_wait_dscnt 0x0
	v_cmpx_ne_u32_e32 -1, v18
	s_cbranch_execz .LBB24_19
; %bb.23:                               ;   in Loop: Header=BB24_21 Depth=2
	v_add_nc_u32_e32 v14, 1, v15
	s_mov_b32 s31, -1
	s_mov_b32 s27, -1
	s_mov_b32 s26, exec_lo
	s_delay_alu instid0(VALU_DEP_1) | instskip(NEXT) | instid1(VALU_DEP_1)
	v_and_b32_e32 v14, 0x3ff, v14
	v_lshl_add_u32 v18, v14, 2, v17
	ds_load_b32 v19, v18
	s_wait_dscnt 0x0
	v_cmpx_ne_u32_e64 v19, v12
	s_cbranch_execz .LBB24_18
; %bb.24:                               ;   in Loop: Header=BB24_21 Depth=2
	ds_cmpstore_rtn_b32 v18, v18, v12, v11
	s_mov_b32 s33, 0
	s_mov_b32 s27, exec_lo
	s_wait_dscnt 0x0
	v_cmpx_ne_u32_e32 -1, v18
	s_cbranch_execz .LBB24_17
; %bb.25:                               ;   in Loop: Header=BB24_21 Depth=2
	v_add_nc_u32_e32 v14, 2, v15
	s_mov_b32 s34, -1
	s_mov_b32 s33, -1
	s_mov_b32 s31, exec_lo
	s_delay_alu instid0(VALU_DEP_1) | instskip(NEXT) | instid1(VALU_DEP_1)
	v_and_b32_e32 v14, 0x3ff, v14
	v_lshl_add_u32 v18, v14, 2, v17
	ds_load_b32 v19, v18
	s_wait_dscnt 0x0
	v_cmpx_ne_u32_e64 v19, v12
	s_cbranch_execz .LBB24_16
; %bb.26:                               ;   in Loop: Header=BB24_21 Depth=2
	ds_cmpstore_rtn_b32 v18, v18, v12, v11
	s_mov_b32 s35, 0
	s_mov_b32 s33, exec_lo
	s_wait_dscnt 0x0
	v_cmpx_ne_u32_e32 -1, v18
	s_cbranch_execz .LBB24_15
; %bb.27:                               ;   in Loop: Header=BB24_21 Depth=2
	v_add_nc_u32_e32 v14, 3, v15
	s_mov_b32 s36, -1
	s_mov_b32 s35, -1
	s_delay_alu instid0(VALU_DEP_1) | instskip(NEXT) | instid1(VALU_DEP_1)
	v_and_b32_e32 v14, 0x3ff, v14
	v_lshl_add_u32 v18, v14, 2, v17
	ds_load_b32 v15, v18
	s_wait_dscnt 0x0
	v_cmp_ne_u32_e32 vcc_lo, v15, v12
                                        ; implicit-def: $vgpr15
	s_and_saveexec_b32 s34, vcc_lo
	s_cbranch_execz .LBB24_14
; %bb.28:                               ;   in Loop: Header=BB24_21 Depth=2
	ds_cmpstore_rtn_b32 v15, v18, v12, v11
	s_mov_b32 s35, 0
	s_wait_dscnt 0x0
	v_cmp_ne_u32_e32 vcc_lo, -1, v15
                                        ; implicit-def: $vgpr15
	s_and_saveexec_b32 s37, vcc_lo
	s_cbranch_execz .LBB24_13
; %bb.29:                               ;   in Loop: Header=BB24_21 Depth=2
	v_dual_add_nc_u32 v13, -4, v13 :: v_dual_add_nc_u32 v15, 1, v14
	s_mov_b32 s35, exec_lo
	s_delay_alu instid0(VALU_DEP_1)
	v_cmp_eq_u32_e32 vcc_lo, 0, v13
	s_or_not1_b32 s36, vcc_lo, exec_lo
	s_branch .LBB24_13
.LBB24_30:                              ;   in Loop: Header=BB24_12 Depth=1
	s_or_b32 exec_lo, exec_lo, s14
	s_xor_b32 s14, s15, -1
	s_delay_alu instid0(SALU_CYCLE_1) | instskip(NEXT) | instid1(SALU_CYCLE_1)
	s_and_saveexec_b32 s15, s14
	s_xor_b32 s14, exec_lo, s15
	s_cbranch_execz .LBB24_11
; %bb.31:                               ;   in Loop: Header=BB24_12 Depth=1
	v_lshl_add_u32 v12, v14, 2, v9
	ds_store_b32 v12, v10
	s_branch .LBB24_11
.LBB24_32:
	s_or_b32 exec_lo, exec_lo, s2
	s_delay_alu instid0(SALU_CYCLE_1)
	s_mov_b32 s2, exec_lo
	s_wait_loadcnt_dscnt 0x0
	v_cmpx_lt_i32_e64 v0, v8
	s_cbranch_execz .LBB24_62
; %bb.33:
	v_add_nc_u32_e32 v18, 1, v16
	s_mov_b32 s3, 0
	s_branch .LBB24_36
.LBB24_34:                              ;   in Loop: Header=BB24_36 Depth=1
	s_or_b32 exec_lo, exec_lo, s15
	v_add_nc_u32_e32 v0, 1, v0
	s_delay_alu instid0(VALU_DEP_1)
	v_cmp_ge_i32_e32 vcc_lo, v0, v8
	s_or_not1_b32 s15, vcc_lo, exec_lo
.LBB24_35:                              ;   in Loop: Header=BB24_36 Depth=1
	s_or_b32 exec_lo, exec_lo, s14
	s_delay_alu instid0(SALU_CYCLE_1) | instskip(NEXT) | instid1(SALU_CYCLE_1)
	s_and_b32 s14, exec_lo, s15
	s_or_b32 s3, s14, s3
	s_delay_alu instid0(SALU_CYCLE_1)
	s_and_not1_b32 exec_lo, exec_lo, s3
	s_cbranch_execz .LBB24_62
.LBB24_36:                              ; =>This Loop Header: Depth=1
                                        ;     Child Loop BB24_37 Depth 2
                                        ;     Child Loop BB24_42 Depth 2
                                        ;       Child Loop BB24_51 Depth 3
	s_clause 0x1
	global_load_b32 v1, v0, s[6:7] scale_offset
	global_load_b64 v[10:11], v0, s[8:9] scale_offset
	s_mov_b32 s14, 0
	s_wait_loadcnt 0x1
	v_subrev_nc_u32_e32 v12, s28, v1
	v_ashrrev_i32_e32 v1, 31, v0
	s_clause 0x1
	global_load_b32 v20, v12, s[4:5] offset:4 scale_offset
	global_load_b32 v19, v12, s[10:11] scale_offset
	v_ashrrev_i32_e32 v13, 31, v12
	v_lshl_add_u64 v[14:15], v[0:1], 3, s[8:9]
	s_wait_xcnt 0x0
	s_delay_alu instid0(VALU_DEP_2)
	v_lshl_add_u64 v[12:13], v[12:13], 2, s[12:13]
.LBB24_37:                              ;   Parent Loop BB24_36 Depth=1
                                        ; =>  This Inner Loop Header: Depth=2
	global_load_b32 v1, v[12:13], off scope:SCOPE_DEV
	s_wait_loadcnt 0x0
	v_cmp_ne_u32_e32 vcc_lo, 0, v1
	s_or_b32 s14, vcc_lo, s14
	s_wait_xcnt 0x0
	s_and_not1_b32 exec_lo, exec_lo, s14
	s_cbranch_execnz .LBB24_37
; %bb.38:                               ;   in Loop: Header=BB24_36 Depth=1
	s_or_b32 exec_lo, exec_lo, s14
	v_subrev_nc_u32_e32 v1, s28, v20
	v_cmp_eq_u32_e32 vcc_lo, -1, v19
	global_inv scope:SCOPE_DEV
	s_mov_b32 s15, -1
	s_mov_b32 s14, exec_lo
	v_add_nc_u32_e32 v12, -1, v1
	s_delay_alu instid0(VALU_DEP_1)
	v_cndmask_b32_e32 v19, v19, v12, vcc_lo
	global_load_b64 v[12:13], v19, s[8:9] scale_offset
	s_wait_loadcnt 0x0
	s_wait_xcnt 0x0
	v_cmpx_neq_f64_e32 0, v[12:13]
	s_cbranch_execz .LBB24_35
; %bb.39:                               ;   in Loop: Header=BB24_36 Depth=1
	v_div_scale_f64 v[20:21], null, v[12:13], v[12:13], v[10:11]
	s_mov_b32 s15, exec_lo
	v_rcp_f64_e32 v[22:23], v[20:21]
	v_nop
	s_delay_alu instid0(TRANS32_DEP_1) | instskip(NEXT) | instid1(VALU_DEP_1)
	v_fma_f64 v[24:25], -v[20:21], v[22:23], 1.0
	v_fmac_f64_e32 v[22:23], v[22:23], v[24:25]
	s_delay_alu instid0(VALU_DEP_1) | instskip(NEXT) | instid1(VALU_DEP_1)
	v_fma_f64 v[24:25], -v[20:21], v[22:23], 1.0
	v_fmac_f64_e32 v[22:23], v[22:23], v[24:25]
	v_div_scale_f64 v[24:25], vcc_lo, v[10:11], v[12:13], v[10:11]
	s_delay_alu instid0(VALU_DEP_1) | instskip(NEXT) | instid1(VALU_DEP_1)
	v_mul_f64_e32 v[26:27], v[24:25], v[22:23]
	v_fma_f64 v[20:21], -v[20:21], v[26:27], v[24:25]
	s_delay_alu instid0(VALU_DEP_1) | instskip(NEXT) | instid1(VALU_DEP_1)
	v_div_fmas_f64 v[20:21], v[20:21], v[22:23], v[26:27]
	v_div_fixup_f64 v[10:11], v[20:21], v[12:13], v[10:11]
	v_add_nc_u32_e32 v12, v18, v19
	global_store_b64 v[14:15], v[10:11], off
	s_wait_xcnt 0x0
	v_cmpx_lt_i32_e64 v12, v1
	s_cbranch_execz .LBB24_34
; %bb.40:                               ;   in Loop: Header=BB24_36 Depth=1
	s_mov_b32 s22, 0
	s_branch .LBB24_42
.LBB24_41:                              ;   in Loop: Header=BB24_42 Depth=2
	s_wait_xcnt 0x0
	s_or_b32 exec_lo, exec_lo, s23
	v_add_nc_u32_e32 v12, 64, v12
	s_delay_alu instid0(VALU_DEP_1) | instskip(SKIP_1) | instid1(SALU_CYCLE_1)
	v_cmp_ge_i32_e32 vcc_lo, v12, v1
	s_or_b32 s22, vcc_lo, s22
	s_and_not1_b32 exec_lo, exec_lo, s22
	s_cbranch_execz .LBB24_34
.LBB24_42:                              ;   Parent Loop BB24_36 Depth=1
                                        ; =>  This Loop Header: Depth=2
                                        ;       Child Loop BB24_51 Depth 3
	global_load_b32 v14, v12, s[6:7] scale_offset
	v_ashrrev_i32_e32 v13, 31, v12
	v_mov_b32_e32 v15, 0x400
	s_mov_b32 s23, 0
                                        ; implicit-def: $sgpr24
                                        ; implicit-def: $sgpr25
                                        ; implicit-def: $sgpr26
	s_wait_loadcnt 0x0
	v_mul_lo_u32 v20, 0x67, v14
	s_branch .LBB24_51
.LBB24_43:                              ;   in Loop: Header=BB24_51 Depth=3
	s_or_b32 exec_lo, exec_lo, s40
	s_delay_alu instid0(SALU_CYCLE_1)
	s_or_not1_b32 s38, s38, exec_lo
	s_or_not1_b32 s39, s39, exec_lo
.LBB24_44:                              ;   in Loop: Header=BB24_51 Depth=3
	s_or_b32 exec_lo, exec_lo, s37
	s_delay_alu instid0(SALU_CYCLE_1)
	s_and_b32 s38, s38, exec_lo
	s_or_not1_b32 s37, s39, exec_lo
.LBB24_45:                              ;   in Loop: Header=BB24_51 Depth=3
	s_or_b32 exec_lo, exec_lo, s36
	s_delay_alu instid0(SALU_CYCLE_1)
	s_or_not1_b32 s36, s38, exec_lo
	s_or_not1_b32 s37, s37, exec_lo
.LBB24_46:                              ;   in Loop: Header=BB24_51 Depth=3
	s_or_b32 exec_lo, exec_lo, s35
	s_delay_alu instid0(SALU_CYCLE_1)
	s_and_b32 s36, s36, exec_lo
	s_or_not1_b32 s35, s37, exec_lo
.LBB24_47:                              ;   in Loop: Header=BB24_51 Depth=3
	s_or_b32 exec_lo, exec_lo, s34
	s_delay_alu instid0(SALU_CYCLE_1)
	s_or_not1_b32 s34, s36, exec_lo
	s_or_not1_b32 s35, s35, exec_lo
.LBB24_48:                              ;   in Loop: Header=BB24_51 Depth=3
	s_or_b32 exec_lo, exec_lo, s33
	s_delay_alu instid0(SALU_CYCLE_1)
	s_and_b32 s34, s34, exec_lo
	s_or_not1_b32 s33, s35, exec_lo
.LBB24_49:                              ;   in Loop: Header=BB24_51 Depth=3
	s_or_b32 exec_lo, exec_lo, s31
	s_delay_alu instid0(SALU_CYCLE_1)
	s_and_not1_b32 s26, s26, exec_lo
	s_and_b32 s31, s34, exec_lo
	s_and_not1_b32 s25, s25, exec_lo
	s_and_b32 s33, s33, exec_lo
	s_or_b32 s26, s26, s31
	s_or_b32 s25, s25, s33
.LBB24_50:                              ;   in Loop: Header=BB24_51 Depth=3
	s_or_b32 exec_lo, exec_lo, s27
	s_delay_alu instid0(SALU_CYCLE_1) | instskip(NEXT) | instid1(SALU_CYCLE_1)
	s_and_b32 s27, exec_lo, s25
	s_or_b32 s23, s27, s23
	s_and_not1_b32 s24, s24, exec_lo
	s_and_b32 s27, s26, exec_lo
	s_delay_alu instid0(SALU_CYCLE_1)
	s_or_b32 s24, s24, s27
	s_and_not1_b32 exec_lo, exec_lo, s23
	s_cbranch_execz .LBB24_60
.LBB24_51:                              ;   Parent Loop BB24_36 Depth=1
                                        ;     Parent Loop BB24_42 Depth=2
                                        ; =>    This Inner Loop Header: Depth=3
	s_delay_alu instid0(VALU_DEP_1) | instskip(SKIP_3) | instid1(VALU_DEP_1)
	v_and_b32_e32 v19, 0x3ff, v20
	s_or_b32 s26, s26, exec_lo
	s_or_b32 s25, s25, exec_lo
	s_mov_b32 s27, exec_lo
	v_lshl_add_u32 v21, v19, 2, v17
	ds_load_b32 v21, v21
	s_wait_dscnt 0x0
	s_wait_xcnt 0x0
	v_cmpx_ne_u32_e32 -1, v21
	s_cbranch_execz .LBB24_50
; %bb.52:                               ;   in Loop: Header=BB24_51 Depth=3
	s_mov_b32 s33, -1
	s_mov_b32 s34, 0
	s_mov_b32 s31, exec_lo
	v_cmpx_ne_u32_e64 v21, v14
	s_cbranch_execz .LBB24_49
; %bb.53:                               ;   in Loop: Header=BB24_51 Depth=3
	v_add_nc_u32_e32 v19, 1, v20
	s_mov_b32 s35, -1
	s_mov_b32 s34, -1
	s_mov_b32 s33, exec_lo
	s_delay_alu instid0(VALU_DEP_1) | instskip(NEXT) | instid1(VALU_DEP_1)
	v_and_b32_e32 v19, 0x3ff, v19
	v_lshl_add_u32 v21, v19, 2, v17
	ds_load_b32 v21, v21
	s_wait_dscnt 0x0
	v_cmpx_ne_u32_e32 -1, v21
	s_cbranch_execz .LBB24_48
; %bb.54:                               ;   in Loop: Header=BB24_51 Depth=3
	s_mov_b32 s36, 0
	s_mov_b32 s34, exec_lo
	v_cmpx_ne_u32_e64 v21, v14
	s_cbranch_execz .LBB24_47
; %bb.55:                               ;   in Loop: Header=BB24_51 Depth=3
	v_add_nc_u32_e32 v19, 2, v20
	s_mov_b32 s37, -1
	s_mov_b32 s36, -1
	s_mov_b32 s35, exec_lo
	s_delay_alu instid0(VALU_DEP_1) | instskip(NEXT) | instid1(VALU_DEP_1)
	v_and_b32_e32 v19, 0x3ff, v19
	v_lshl_add_u32 v21, v19, 2, v17
	ds_load_b32 v21, v21
	s_wait_dscnt 0x0
	v_cmpx_ne_u32_e32 -1, v21
	s_cbranch_execz .LBB24_46
; %bb.56:                               ;   in Loop: Header=BB24_51 Depth=3
	s_mov_b32 s38, 0
	s_mov_b32 s36, exec_lo
	v_cmpx_ne_u32_e64 v21, v14
	s_cbranch_execz .LBB24_45
; %bb.57:                               ;   in Loop: Header=BB24_51 Depth=3
	v_add_nc_u32_e32 v19, 3, v20
	s_mov_b32 s39, -1
	s_mov_b32 s38, -1
	s_mov_b32 s37, exec_lo
	s_delay_alu instid0(VALU_DEP_1) | instskip(NEXT) | instid1(VALU_DEP_1)
	v_and_b32_e32 v19, 0x3ff, v19
	v_lshl_add_u32 v20, v19, 2, v17
	ds_load_b32 v21, v20
                                        ; implicit-def: $vgpr20
	s_wait_dscnt 0x0
	v_cmpx_ne_u32_e32 -1, v21
	s_cbranch_execz .LBB24_44
; %bb.58:                               ;   in Loop: Header=BB24_51 Depth=3
	s_mov_b32 s38, 0
	s_mov_b32 s40, exec_lo
                                        ; implicit-def: $vgpr20
	v_cmpx_ne_u32_e64 v21, v14
	s_cbranch_execz .LBB24_43
; %bb.59:                               ;   in Loop: Header=BB24_51 Depth=3
	v_add_nc_u32_e32 v15, -4, v15
	v_add_nc_u32_e32 v20, 1, v19
	s_mov_b32 s38, exec_lo
	s_delay_alu instid0(VALU_DEP_2)
	v_cmp_eq_u32_e32 vcc_lo, 0, v15
	s_or_not1_b32 s39, vcc_lo, exec_lo
	s_branch .LBB24_43
.LBB24_60:                              ;   in Loop: Header=BB24_42 Depth=2
	s_or_b32 exec_lo, exec_lo, s23
	s_xor_b32 s23, s24, -1
	s_delay_alu instid0(SALU_CYCLE_1) | instskip(NEXT) | instid1(SALU_CYCLE_1)
	s_and_saveexec_b32 s24, s23
	s_xor_b32 s23, exec_lo, s24
	s_cbranch_execz .LBB24_41
; %bb.61:                               ;   in Loop: Header=BB24_42 Depth=2
	v_lshl_add_u32 v14, v19, 2, v9
	ds_load_b32 v19, v14
	v_lshl_add_u64 v[14:15], v[12:13], 3, s[8:9]
	global_load_b64 v[20:21], v[14:15], off
	s_wait_dscnt 0x0
	global_load_b64 v[22:23], v19, s[8:9] scale_offset
	s_wait_loadcnt 0x0
	s_wait_xcnt 0x1
	v_fma_f64 v[14:15], -v[10:11], v[20:21], v[22:23]
	global_store_b64 v19, v[14:15], s[8:9] scale_offset
	s_branch .LBB24_41
.LBB24_62:
	s_or_b32 exec_lo, exec_lo, s2
	s_mov_b32 s4, -1
	s_mov_b32 s3, exec_lo
	s_wait_storecnt 0x0
	v_cmpx_lt_i32_e32 -1, v8
	s_cbranch_execz .LBB24_78
; %bb.63:
	global_load_b64 v[0:1], v8, s[8:9] scale_offset
	v_cmp_eq_u32_e64 s2, 0, v16
	s_wait_loadcnt 0x0
	v_cmp_gt_f64_e32 vcc_lo, 0, v[0:1]
	v_xor_b32_e32 v9, 0x80000000, v1
	s_delay_alu instid0(VALU_DEP_1)
	v_dual_mov_b32 v10, v0 :: v_dual_cndmask_b32 v11, v1, v9
	s_and_not1_b32 vcc_lo, exec_lo, s29
	s_cbranch_vccnz .LBB24_67
; %bb.64:
	v_cvt_f64_f32_e32 v[12:13], s30
	s_cmp_eq_u64 s[20:21], 8
	s_cselect_b32 vcc_lo, -1, 0
	s_delay_alu instid0(VALU_DEP_1) | instskip(NEXT) | instid1(VALU_DEP_1)
	v_dual_cndmask_b32 v5, v13, v5 :: v_dual_cndmask_b32 v4, v12, v4
	v_cmp_le_f64_e32 vcc_lo, v[10:11], v[4:5]
	s_and_b32 s5, s2, vcc_lo
	s_delay_alu instid0(SALU_CYCLE_1)
	s_and_saveexec_b32 s4, s5
	s_cbranch_execz .LBB24_66
; %bb.65:
	v_mov_b32_e32 v9, 0
	s_delay_alu instid0(VALU_DEP_1)
	v_lshl_add_u64 v[4:5], v[8:9], 3, s[8:9]
	global_store_b64 v[4:5], v[6:7], off
	global_wb scope:SCOPE_DEV
	s_wait_storecnt 0x0
	global_inv scope:SCOPE_DEV
.LBB24_66:
	s_wait_xcnt 0x0
	s_or_b32 exec_lo, exec_lo, s4
	s_mov_b32 s4, 0
.LBB24_67:
	s_delay_alu instid0(SALU_CYCLE_1)
	s_and_not1_b32 vcc_lo, exec_lo, s4
	s_cbranch_vccnz .LBB24_78
; %bb.68:
	s_load_b64 s[0:1], s[0:1], 0x48
	v_add_nc_u32_e32 v4, s28, v2
	s_wait_kmcnt 0x0
	v_cmp_ge_f64_e32 vcc_lo, s[0:1], v[10:11]
	s_and_b32 s1, s2, vcc_lo
	s_delay_alu instid0(SALU_CYCLE_1)
	s_and_saveexec_b32 s0, s1
	s_cbranch_execz .LBB24_73
; %bb.69:
	s_mov_b32 s4, exec_lo
	s_brev_b32 s1, -2
.LBB24_70:                              ; =>This Inner Loop Header: Depth=1
	s_ctz_i32_b32 s5, s4
	s_delay_alu instid0(SALU_CYCLE_1) | instskip(SKIP_1) | instid1(SALU_CYCLE_1)
	v_readlane_b32 s6, v4, s5
	s_lshl_b32 s5, 1, s5
	s_and_not1_b32 s4, s4, s5
	s_min_i32 s1, s1, s6
	s_cmp_lg_u32 s4, 0
	s_cbranch_scc1 .LBB24_70
; %bb.71:
	v_mbcnt_lo_u32_b32 v5, exec_lo, 0
	s_mov_b32 s4, exec_lo
	s_delay_alu instid0(VALU_DEP_1)
	v_cmpx_eq_u32_e32 0, v5
	s_xor_b32 s4, exec_lo, s4
	s_cbranch_execz .LBB24_73
; %bb.72:
	v_dual_mov_b32 v5, 0 :: v_dual_mov_b32 v6, s1
	global_atomic_min_i32 v5, v6, s[18:19] scope:SCOPE_DEV
.LBB24_73:
	s_wait_xcnt 0x0
	s_or_b32 exec_lo, exec_lo, s0
	v_cmp_eq_f64_e32 vcc_lo, 0, v[0:1]
	s_and_b32 s0, s2, vcc_lo
	s_delay_alu instid0(SALU_CYCLE_1)
	s_and_b32 exec_lo, exec_lo, s0
	s_cbranch_execz .LBB24_78
; %bb.74:
	s_mov_b32 s1, exec_lo
	s_brev_b32 s0, -2
.LBB24_75:                              ; =>This Inner Loop Header: Depth=1
	s_ctz_i32_b32 s2, s1
	s_delay_alu instid0(SALU_CYCLE_1) | instskip(SKIP_1) | instid1(SALU_CYCLE_1)
	v_readlane_b32 s4, v4, s2
	s_lshl_b32 s2, 1, s2
	s_and_not1_b32 s1, s1, s2
	s_min_i32 s0, s0, s4
	s_cmp_lg_u32 s1, 0
	s_cbranch_scc1 .LBB24_75
; %bb.76:
	v_mbcnt_lo_u32_b32 v0, exec_lo, 0
	s_mov_b32 s1, exec_lo
	s_delay_alu instid0(VALU_DEP_1)
	v_cmpx_eq_u32_e32 0, v0
	s_xor_b32 s1, exec_lo, s1
	s_cbranch_execz .LBB24_78
; %bb.77:
	v_dual_mov_b32 v0, 0 :: v_dual_mov_b32 v1, s0
	global_atomic_min_i32 v0, v1, s[16:17] scope:SCOPE_DEV
.LBB24_78:
	s_wait_xcnt 0x0
	s_or_b32 exec_lo, exec_lo, s3
	v_cmp_eq_u32_e32 vcc_lo, 0, v16
	global_wb scope:SCOPE_DEV
	s_wait_loadcnt 0x0
	s_wait_storecnt 0x0
	global_inv scope:SCOPE_DEV
	s_and_b32 exec_lo, exec_lo, vcc_lo
	s_cbranch_execz .LBB24_80
; %bb.79:
	v_lshl_add_u64 v[0:1], v[2:3], 2, s[12:13]
	v_mov_b32_e32 v2, 1
	global_wb scope:SCOPE_DEV
	s_wait_loadcnt 0x0
	s_wait_storecnt 0x0
	global_store_b32 v[0:1], v2, off scope:SCOPE_DEV
.LBB24_80:
	s_endpgm
	.section	.rodata,"a",@progbits
	.p2align	6, 0x0
	.amdhsa_kernel _ZN9rocsparseL12csrilu0_hashILj256ELj64ELj16EdEEviPKiS2_PT2_S2_PiS2_S5_S5_d21rocsparse_index_base_imNS_24const_host_device_scalarIfEENS7_IdEENS7_IS3_EEb
		.amdhsa_group_segment_fixed_size 32768
		.amdhsa_private_segment_fixed_size 0
		.amdhsa_kernarg_size 124
		.amdhsa_user_sgpr_count 2
		.amdhsa_user_sgpr_dispatch_ptr 0
		.amdhsa_user_sgpr_queue_ptr 0
		.amdhsa_user_sgpr_kernarg_segment_ptr 1
		.amdhsa_user_sgpr_dispatch_id 0
		.amdhsa_user_sgpr_kernarg_preload_length 0
		.amdhsa_user_sgpr_kernarg_preload_offset 0
		.amdhsa_user_sgpr_private_segment_size 0
		.amdhsa_wavefront_size32 1
		.amdhsa_uses_dynamic_stack 0
		.amdhsa_enable_private_segment 0
		.amdhsa_system_sgpr_workgroup_id_x 1
		.amdhsa_system_sgpr_workgroup_id_y 0
		.amdhsa_system_sgpr_workgroup_id_z 0
		.amdhsa_system_sgpr_workgroup_info 0
		.amdhsa_system_vgpr_workitem_id 0
		.amdhsa_next_free_vgpr 28
		.amdhsa_next_free_sgpr 41
		.amdhsa_named_barrier_count 0
		.amdhsa_reserve_vcc 1
		.amdhsa_float_round_mode_32 0
		.amdhsa_float_round_mode_16_64 0
		.amdhsa_float_denorm_mode_32 3
		.amdhsa_float_denorm_mode_16_64 3
		.amdhsa_fp16_overflow 0
		.amdhsa_memory_ordered 1
		.amdhsa_forward_progress 1
		.amdhsa_inst_pref_size 23
		.amdhsa_round_robin_scheduling 0
		.amdhsa_exception_fp_ieee_invalid_op 0
		.amdhsa_exception_fp_denorm_src 0
		.amdhsa_exception_fp_ieee_div_zero 0
		.amdhsa_exception_fp_ieee_overflow 0
		.amdhsa_exception_fp_ieee_underflow 0
		.amdhsa_exception_fp_ieee_inexact 0
		.amdhsa_exception_int_div_zero 0
	.end_amdhsa_kernel
	.section	.text._ZN9rocsparseL12csrilu0_hashILj256ELj64ELj16EdEEviPKiS2_PT2_S2_PiS2_S5_S5_d21rocsparse_index_base_imNS_24const_host_device_scalarIfEENS7_IdEENS7_IS3_EEb,"axG",@progbits,_ZN9rocsparseL12csrilu0_hashILj256ELj64ELj16EdEEviPKiS2_PT2_S2_PiS2_S5_S5_d21rocsparse_index_base_imNS_24const_host_device_scalarIfEENS7_IdEENS7_IS3_EEb,comdat
.Lfunc_end24:
	.size	_ZN9rocsparseL12csrilu0_hashILj256ELj64ELj16EdEEviPKiS2_PT2_S2_PiS2_S5_S5_d21rocsparse_index_base_imNS_24const_host_device_scalarIfEENS7_IdEENS7_IS3_EEb, .Lfunc_end24-_ZN9rocsparseL12csrilu0_hashILj256ELj64ELj16EdEEviPKiS2_PT2_S2_PiS2_S5_S5_d21rocsparse_index_base_imNS_24const_host_device_scalarIfEENS7_IdEENS7_IS3_EEb
                                        ; -- End function
	.set _ZN9rocsparseL12csrilu0_hashILj256ELj64ELj16EdEEviPKiS2_PT2_S2_PiS2_S5_S5_d21rocsparse_index_base_imNS_24const_host_device_scalarIfEENS7_IdEENS7_IS3_EEb.num_vgpr, 28
	.set _ZN9rocsparseL12csrilu0_hashILj256ELj64ELj16EdEEviPKiS2_PT2_S2_PiS2_S5_S5_d21rocsparse_index_base_imNS_24const_host_device_scalarIfEENS7_IdEENS7_IS3_EEb.num_agpr, 0
	.set _ZN9rocsparseL12csrilu0_hashILj256ELj64ELj16EdEEviPKiS2_PT2_S2_PiS2_S5_S5_d21rocsparse_index_base_imNS_24const_host_device_scalarIfEENS7_IdEENS7_IS3_EEb.numbered_sgpr, 41
	.set _ZN9rocsparseL12csrilu0_hashILj256ELj64ELj16EdEEviPKiS2_PT2_S2_PiS2_S5_S5_d21rocsparse_index_base_imNS_24const_host_device_scalarIfEENS7_IdEENS7_IS3_EEb.num_named_barrier, 0
	.set _ZN9rocsparseL12csrilu0_hashILj256ELj64ELj16EdEEviPKiS2_PT2_S2_PiS2_S5_S5_d21rocsparse_index_base_imNS_24const_host_device_scalarIfEENS7_IdEENS7_IS3_EEb.private_seg_size, 0
	.set _ZN9rocsparseL12csrilu0_hashILj256ELj64ELj16EdEEviPKiS2_PT2_S2_PiS2_S5_S5_d21rocsparse_index_base_imNS_24const_host_device_scalarIfEENS7_IdEENS7_IS3_EEb.uses_vcc, 1
	.set _ZN9rocsparseL12csrilu0_hashILj256ELj64ELj16EdEEviPKiS2_PT2_S2_PiS2_S5_S5_d21rocsparse_index_base_imNS_24const_host_device_scalarIfEENS7_IdEENS7_IS3_EEb.uses_flat_scratch, 0
	.set _ZN9rocsparseL12csrilu0_hashILj256ELj64ELj16EdEEviPKiS2_PT2_S2_PiS2_S5_S5_d21rocsparse_index_base_imNS_24const_host_device_scalarIfEENS7_IdEENS7_IS3_EEb.has_dyn_sized_stack, 0
	.set _ZN9rocsparseL12csrilu0_hashILj256ELj64ELj16EdEEviPKiS2_PT2_S2_PiS2_S5_S5_d21rocsparse_index_base_imNS_24const_host_device_scalarIfEENS7_IdEENS7_IS3_EEb.has_recursion, 0
	.set _ZN9rocsparseL12csrilu0_hashILj256ELj64ELj16EdEEviPKiS2_PT2_S2_PiS2_S5_S5_d21rocsparse_index_base_imNS_24const_host_device_scalarIfEENS7_IdEENS7_IS3_EEb.has_indirect_call, 0
	.section	.AMDGPU.csdata,"",@progbits
; Kernel info:
; codeLenInByte = 2872
; TotalNumSgprs: 43
; NumVgprs: 28
; ScratchSize: 0
; MemoryBound: 0
; FloatMode: 240
; IeeeMode: 1
; LDSByteSize: 32768 bytes/workgroup (compile time only)
; SGPRBlocks: 0
; VGPRBlocks: 1
; NumSGPRsForWavesPerEU: 43
; NumVGPRsForWavesPerEU: 28
; NamedBarCnt: 0
; Occupancy: 16
; WaveLimiterHint : 1
; COMPUTE_PGM_RSRC2:SCRATCH_EN: 0
; COMPUTE_PGM_RSRC2:USER_SGPR: 2
; COMPUTE_PGM_RSRC2:TRAP_HANDLER: 0
; COMPUTE_PGM_RSRC2:TGID_X_EN: 1
; COMPUTE_PGM_RSRC2:TGID_Y_EN: 0
; COMPUTE_PGM_RSRC2:TGID_Z_EN: 0
; COMPUTE_PGM_RSRC2:TIDIG_COMP_CNT: 0
	.section	.text._ZN9rocsparseL17csrilu0_binsearchILj256ELj64ELb0EdEEviPKiS2_PT2_S2_PiS2_S5_S5_d21rocsparse_index_base_imNS_24const_host_device_scalarIfEENS7_IdEENS7_IS3_EEb,"axG",@progbits,_ZN9rocsparseL17csrilu0_binsearchILj256ELj64ELb0EdEEviPKiS2_PT2_S2_PiS2_S5_S5_d21rocsparse_index_base_imNS_24const_host_device_scalarIfEENS7_IdEENS7_IS3_EEb,comdat
	.globl	_ZN9rocsparseL17csrilu0_binsearchILj256ELj64ELb0EdEEviPKiS2_PT2_S2_PiS2_S5_S5_d21rocsparse_index_base_imNS_24const_host_device_scalarIfEENS7_IdEENS7_IS3_EEb ; -- Begin function _ZN9rocsparseL17csrilu0_binsearchILj256ELj64ELb0EdEEviPKiS2_PT2_S2_PiS2_S5_S5_d21rocsparse_index_base_imNS_24const_host_device_scalarIfEENS7_IdEENS7_IS3_EEb
	.p2align	8
	.type	_ZN9rocsparseL17csrilu0_binsearchILj256ELj64ELb0EdEEviPKiS2_PT2_S2_PiS2_S5_S5_d21rocsparse_index_base_imNS_24const_host_device_scalarIfEENS7_IdEENS7_IS3_EEb,@function
_ZN9rocsparseL17csrilu0_binsearchILj256ELj64ELb0EdEEviPKiS2_PT2_S2_PiS2_S5_S5_d21rocsparse_index_base_imNS_24const_host_device_scalarIfEENS7_IdEENS7_IS3_EEb: ; @_ZN9rocsparseL17csrilu0_binsearchILj256ELj64ELb0EdEEviPKiS2_PT2_S2_PiS2_S5_S5_d21rocsparse_index_base_imNS_24const_host_device_scalarIfEENS7_IdEENS7_IS3_EEb
; %bb.0:
	s_clause 0x2
	s_load_b32 s2, s[0:1], 0x78
	s_load_b64 s[28:29], s[0:1], 0x50
	s_load_b256 s[20:27], s[0:1], 0x58
	s_wait_kmcnt 0x0
	s_bitcmp1_b32 s2, 0
	s_cselect_b32 s2, -1, 0
	s_cmp_eq_u32 s29, 0
	s_cselect_b32 s4, -1, 0
	s_cmp_lg_u32 s29, 0
	s_cselect_b32 s29, -1, 0
	s_or_b32 s6, s4, s2
	s_delay_alu instid0(SALU_CYCLE_1)
	s_xor_b32 s5, s6, -1
	s_and_b32 s2, s4, exec_lo
	s_cselect_b32 s3, 0, s25
	s_cselect_b32 s2, 0, s24
	;; [unrolled: 1-line block ×3, first 2 shown]
	s_and_b32 vcc_lo, exec_lo, s6
	s_cbranch_vccnz .LBB25_2
; %bb.1:
	s_load_b32 s30, s[22:23], 0x0
	s_mov_b64 s[2:3], s[24:25]
.LBB25_2:
	s_delay_alu instid0(SALU_CYCLE_1)
	v_mov_b64_e32 v[4:5], s[2:3]
	v_cndmask_b32_e64 v1, 0, 1, s5
	s_and_not1_b32 vcc_lo, exec_lo, s5
	s_cbranch_vccnz .LBB25_4
; %bb.3:
	v_mov_b32_e32 v2, 0
	flat_load_b64 v[4:5], v2, s[24:25]
.LBB25_4:
	s_and_b32 s2, s4, exec_lo
	s_cselect_b32 s3, 0, s27
	s_cselect_b32 s2, 0, s26
	v_cmp_ne_u32_e32 vcc_lo, 1, v1
	v_mov_b64_e32 v[6:7], s[2:3]
	s_cbranch_vccnz .LBB25_6
; %bb.5:
	v_mov_b32_e32 v1, 0
	flat_load_b64 v[6:7], v1, s[26:27]
.LBB25_6:
	s_load_b32 s2, s[0:1], 0x0
	s_bfe_u32 s3, ttmp6, 0x4000c
	s_and_b32 s4, ttmp6, 15
	s_add_co_i32 s3, s3, 1
	s_getreg_b32 s5, hwreg(HW_REG_IB_STS2, 6, 4)
	s_mul_i32 s3, ttmp9, s3
	v_lshrrev_b32_e32 v1, 6, v0
	s_add_co_i32 s4, s4, s3
	s_cmp_eq_u32 s5, 0
	s_cselect_b32 s3, ttmp9, s4
	s_delay_alu instid0(SALU_CYCLE_1) | instskip(NEXT) | instid1(SALU_CYCLE_1)
	s_lshl_b32 s3, s3, 2
	v_and_or_b32 v1, 0x3fffffc, s3, v1
	s_wait_kmcnt 0x0
	s_delay_alu instid0(VALU_DEP_1)
	v_cmp_gt_i32_e32 vcc_lo, s2, v1
	s_and_saveexec_b32 s2, vcc_lo
	s_cbranch_execz .LBB25_42
; %bb.7:
	s_load_b512 s[4:19], s[0:1], 0x8
	s_mov_b32 s2, exec_lo
	s_wait_kmcnt 0x0
	global_load_b32 v2, v1, s[14:15] scale_offset
	v_and_b32_e32 v16, 63, v0
	s_wait_loadcnt 0x0
	s_clause 0x1
	global_load_b32 v1, v2, s[4:5] scale_offset
	global_load_b32 v8, v2, s[10:11] scale_offset
	v_ashrrev_i32_e32 v3, 31, v2
	s_wait_loadcnt 0x1
	v_subrev_nc_u32_e32 v10, s28, v1
	s_wait_loadcnt 0x0
	s_delay_alu instid0(VALU_DEP_1)
	v_cmpx_lt_i32_e64 v10, v8
	s_cbranch_execz .LBB25_24
; %bb.8:
	v_lshl_add_u64 v[0:1], v[2:3], 2, s[4:5]
	v_add_nc_u32_e32 v9, 1, v16
	s_mov_b32 s3, 0
	global_load_b32 v0, v[0:1], off offset:4
	s_wait_loadcnt 0x0
	v_xad_u32 v17, s28, -1, v0
	s_branch .LBB25_11
.LBB25_9:                               ;   in Loop: Header=BB25_11 Depth=1
	s_or_b32 exec_lo, exec_lo, s15
	v_cmp_ge_i32_e32 vcc_lo, v10, v8
	s_or_not1_b32 s15, vcc_lo, exec_lo
.LBB25_10:                              ;   in Loop: Header=BB25_11 Depth=1
	s_or_b32 exec_lo, exec_lo, s14
	s_delay_alu instid0(SALU_CYCLE_1) | instskip(NEXT) | instid1(SALU_CYCLE_1)
	s_and_b32 s14, exec_lo, s15
	s_or_b32 s3, s14, s3
	s_delay_alu instid0(SALU_CYCLE_1)
	s_and_not1_b32 exec_lo, exec_lo, s3
	s_cbranch_execz .LBB25_24
.LBB25_11:                              ; =>This Loop Header: Depth=1
                                        ;     Child Loop BB25_13 Depth 2
                                        ;     Child Loop BB25_18 Depth 2
                                        ;       Child Loop BB25_20 Depth 3
	s_clause 0x1
	global_load_b32 v11, v10, s[6:7] scale_offset
	global_load_b64 v[0:1], v10, s[8:9] scale_offset
	s_mov_b32 s14, exec_lo
	s_wait_loadcnt 0x1
	v_subrev_nc_u32_e32 v12, s28, v11
	s_clause 0x2
	global_load_b32 v19, v12, s[4:5] offset:4 scale_offset
	global_load_b32 v18, v12, s[10:11] scale_offset
	global_load_b32 v11, v12, s[12:13] scale_offset scope:SCOPE_DEV
	s_wait_loadcnt 0x0
	s_wait_xcnt 0x0
	v_cmpx_eq_u32_e32 0, v11
	s_cbranch_execz .LBB25_14
; %bb.12:                               ;   in Loop: Header=BB25_11 Depth=1
	v_ashrrev_i32_e32 v13, 31, v12
	s_mov_b32 s15, 0
	s_delay_alu instid0(VALU_DEP_1)
	v_lshl_add_u64 v[12:13], v[12:13], 2, s[12:13]
.LBB25_13:                              ;   Parent Loop BB25_11 Depth=1
                                        ; =>  This Inner Loop Header: Depth=2
	global_load_b32 v11, v[12:13], off scope:SCOPE_DEV
	s_wait_loadcnt 0x0
	v_cmp_ne_u32_e32 vcc_lo, 0, v11
	s_or_b32 s15, vcc_lo, s15
	s_wait_xcnt 0x0
	s_and_not1_b32 exec_lo, exec_lo, s15
	s_cbranch_execnz .LBB25_13
.LBB25_14:                              ;   in Loop: Header=BB25_11 Depth=1
	s_or_b32 exec_lo, exec_lo, s14
	v_cmp_eq_u32_e32 vcc_lo, -1, v18
	v_ashrrev_i32_e32 v11, 31, v10
	s_wait_dscnt 0x0
	global_inv scope:SCOPE_DEV
	s_mov_b32 s15, -1
	s_mov_b32 s14, exec_lo
	v_lshl_add_u64 v[14:15], v[10:11], 3, s[8:9]
	v_subrev_nc_u32_e32 v11, s28, v19
	s_delay_alu instid0(VALU_DEP_1) | instskip(NEXT) | instid1(VALU_DEP_1)
	v_add_nc_u32_e32 v12, -1, v11
	v_cndmask_b32_e32 v18, v18, v12, vcc_lo
	global_load_b64 v[12:13], v18, s[8:9] scale_offset
	s_wait_loadcnt 0x0
	s_wait_xcnt 0x0
	v_cmpx_neq_f64_e32 0, v[12:13]
	s_xor_b32 s14, exec_lo, s14
	s_cbranch_execz .LBB25_10
; %bb.15:                               ;   in Loop: Header=BB25_11 Depth=1
	v_div_scale_f64 v[20:21], null, v[12:13], v[12:13], v[0:1]
	v_add_nc_u32_e32 v10, 1, v10
	s_mov_b32 s15, exec_lo
	s_delay_alu instid0(VALU_DEP_2) | instskip(SKIP_1) | instid1(TRANS32_DEP_1)
	v_rcp_f64_e32 v[22:23], v[20:21]
	v_nop
	v_fma_f64 v[24:25], -v[20:21], v[22:23], 1.0
	s_delay_alu instid0(VALU_DEP_1) | instskip(NEXT) | instid1(VALU_DEP_1)
	v_fmac_f64_e32 v[22:23], v[22:23], v[24:25]
	v_fma_f64 v[24:25], -v[20:21], v[22:23], 1.0
	s_delay_alu instid0(VALU_DEP_1) | instskip(SKIP_1) | instid1(VALU_DEP_1)
	v_fmac_f64_e32 v[22:23], v[22:23], v[24:25]
	v_div_scale_f64 v[24:25], vcc_lo, v[0:1], v[12:13], v[0:1]
	v_mul_f64_e32 v[26:27], v[24:25], v[22:23]
	s_delay_alu instid0(VALU_DEP_1) | instskip(NEXT) | instid1(VALU_DEP_1)
	v_fma_f64 v[20:21], -v[20:21], v[26:27], v[24:25]
	v_div_fmas_f64 v[20:21], v[20:21], v[22:23], v[26:27]
	s_delay_alu instid0(VALU_DEP_1)
	v_div_fixup_f64 v[0:1], v[20:21], v[12:13], v[0:1]
	v_add_nc_u32_e32 v12, v9, v18
	global_store_b64 v[14:15], v[0:1], off
	s_wait_xcnt 0x0
	v_cmpx_lt_i32_e64 v12, v11
	s_cbranch_execz .LBB25_9
; %bb.16:                               ;   in Loop: Header=BB25_11 Depth=1
	v_mov_b32_e32 v14, v10
	s_mov_b32 s22, 0
	s_branch .LBB25_18
.LBB25_17:                              ;   in Loop: Header=BB25_18 Depth=2
	s_wait_xcnt 0x0
	s_or_b32 exec_lo, exec_lo, s23
	v_add_nc_u32_e32 v12, 64, v12
	s_delay_alu instid0(VALU_DEP_1) | instskip(SKIP_1) | instid1(SALU_CYCLE_1)
	v_cmp_ge_i32_e32 vcc_lo, v12, v11
	s_or_b32 s22, vcc_lo, s22
	s_and_not1_b32 exec_lo, exec_lo, s22
	s_cbranch_execz .LBB25_9
.LBB25_18:                              ;   Parent Loop BB25_11 Depth=1
                                        ; =>  This Loop Header: Depth=2
                                        ;       Child Loop BB25_20 Depth 3
	s_delay_alu instid0(VALU_DEP_1) | instskip(SKIP_1) | instid1(VALU_DEP_1)
	v_add_nc_u32_e32 v13, v14, v17
	s_mov_b32 s23, exec_lo
	v_ashrrev_i32_e32 v13, 1, v13
	s_clause 0x1
	global_load_b32 v15, v12, s[6:7] scale_offset
	global_load_b32 v18, v13, s[6:7] scale_offset
	s_wait_xcnt 0x0
	v_cmpx_lt_i32_e64 v14, v17
	s_cbranch_execz .LBB25_22
; %bb.19:                               ;   in Loop: Header=BB25_18 Depth=2
	v_mov_b32_e32 v19, v17
	s_mov_b32 s24, 0
.LBB25_20:                              ;   Parent Loop BB25_11 Depth=1
                                        ;     Parent Loop BB25_18 Depth=2
                                        ; =>    This Inner Loop Header: Depth=3
	s_wait_loadcnt 0x0
	v_cmp_lt_i32_e32 vcc_lo, v18, v15
	s_delay_alu instid0(VALU_DEP_2) | instskip(NEXT) | instid1(VALU_DEP_1)
	v_dual_cndmask_b32 v19, v13, v19 :: v_dual_add_nc_u32 v20, 1, v13
	v_cndmask_b32_e32 v14, v14, v20, vcc_lo
	s_delay_alu instid0(VALU_DEP_1) | instskip(NEXT) | instid1(VALU_DEP_1)
	v_add_nc_u32_e32 v13, v19, v14
	v_ashrrev_i32_e32 v13, 1, v13
	v_cmp_ge_i32_e32 vcc_lo, v14, v19
	global_load_b32 v18, v13, s[6:7] scale_offset
	s_or_b32 s24, vcc_lo, s24
	s_wait_xcnt 0x0
	s_and_not1_b32 exec_lo, exec_lo, s24
	s_cbranch_execnz .LBB25_20
; %bb.21:                               ;   in Loop: Header=BB25_18 Depth=2
	s_or_b32 exec_lo, exec_lo, s24
.LBB25_22:                              ;   in Loop: Header=BB25_18 Depth=2
	s_delay_alu instid0(SALU_CYCLE_1)
	s_or_b32 exec_lo, exec_lo, s23
	v_ashrrev_i32_e32 v13, 31, v12
	s_mov_b32 s23, exec_lo
	s_wait_loadcnt 0x0
	v_cmpx_eq_u32_e64 v18, v15
	s_cbranch_execz .LBB25_17
; %bb.23:                               ;   in Loop: Header=BB25_18 Depth=2
	v_lshl_add_u64 v[18:19], v[12:13], 3, s[8:9]
	s_clause 0x1
	global_load_b64 v[20:21], v[18:19], off
	global_load_b64 v[22:23], v14, s[8:9] scale_offset
	s_wait_loadcnt 0x0
	s_wait_xcnt 0x1
	v_fma_f64 v[18:19], -v[0:1], v[20:21], v[22:23]
	global_store_b64 v14, v[18:19], s[8:9] scale_offset
	s_branch .LBB25_17
.LBB25_24:
	s_or_b32 exec_lo, exec_lo, s2
	s_mov_b32 s4, -1
	s_mov_b32 s3, exec_lo
	s_wait_storecnt_dscnt 0x0
	v_cmpx_lt_i32_e32 -1, v8
	s_cbranch_execz .LBB25_40
; %bb.25:
	global_load_b64 v[0:1], v8, s[8:9] scale_offset
	v_cmp_eq_u32_e64 s2, 0, v16
	s_wait_loadcnt 0x0
	v_cmp_gt_f64_e32 vcc_lo, 0, v[0:1]
	v_xor_b32_e32 v9, 0x80000000, v1
	s_delay_alu instid0(VALU_DEP_1)
	v_dual_mov_b32 v10, v0 :: v_dual_cndmask_b32 v11, v1, v9
	s_and_not1_b32 vcc_lo, exec_lo, s29
	s_cbranch_vccnz .LBB25_29
; %bb.26:
	v_cvt_f64_f32_e32 v[12:13], s30
	s_cmp_eq_u64 s[20:21], 8
	s_cselect_b32 vcc_lo, -1, 0
	s_delay_alu instid0(VALU_DEP_1) | instskip(NEXT) | instid1(VALU_DEP_1)
	v_dual_cndmask_b32 v5, v13, v5 :: v_dual_cndmask_b32 v4, v12, v4
	v_cmp_le_f64_e32 vcc_lo, v[10:11], v[4:5]
	s_and_b32 s5, s2, vcc_lo
	s_delay_alu instid0(SALU_CYCLE_1)
	s_and_saveexec_b32 s4, s5
	s_cbranch_execz .LBB25_28
; %bb.27:
	v_mov_b32_e32 v9, 0
	s_delay_alu instid0(VALU_DEP_1)
	v_lshl_add_u64 v[4:5], v[8:9], 3, s[8:9]
	global_store_b64 v[4:5], v[6:7], off
.LBB25_28:
	s_wait_xcnt 0x0
	s_or_b32 exec_lo, exec_lo, s4
	s_mov_b32 s4, 0
.LBB25_29:
	s_delay_alu instid0(SALU_CYCLE_1)
	s_and_not1_b32 vcc_lo, exec_lo, s4
	s_cbranch_vccnz .LBB25_40
; %bb.30:
	s_load_b64 s[0:1], s[0:1], 0x48
	v_add_nc_u32_e32 v4, s28, v2
	s_wait_kmcnt 0x0
	v_cmp_ge_f64_e32 vcc_lo, s[0:1], v[10:11]
	s_and_b32 s1, s2, vcc_lo
	s_delay_alu instid0(SALU_CYCLE_1)
	s_and_saveexec_b32 s0, s1
	s_cbranch_execz .LBB25_35
; %bb.31:
	s_mov_b32 s4, exec_lo
	s_brev_b32 s1, -2
.LBB25_32:                              ; =>This Inner Loop Header: Depth=1
	s_ctz_i32_b32 s5, s4
	s_delay_alu instid0(SALU_CYCLE_1) | instskip(SKIP_1) | instid1(SALU_CYCLE_1)
	v_readlane_b32 s6, v4, s5
	s_lshl_b32 s5, 1, s5
	s_and_not1_b32 s4, s4, s5
	s_min_i32 s1, s1, s6
	s_cmp_lg_u32 s4, 0
	s_cbranch_scc1 .LBB25_32
; %bb.33:
	v_mbcnt_lo_u32_b32 v5, exec_lo, 0
	s_mov_b32 s4, exec_lo
	s_delay_alu instid0(VALU_DEP_1)
	v_cmpx_eq_u32_e32 0, v5
	s_xor_b32 s4, exec_lo, s4
	s_cbranch_execz .LBB25_35
; %bb.34:
	v_dual_mov_b32 v5, 0 :: v_dual_mov_b32 v6, s1
	global_atomic_min_i32 v5, v6, s[18:19] scope:SCOPE_DEV
.LBB25_35:
	s_wait_xcnt 0x0
	s_or_b32 exec_lo, exec_lo, s0
	v_cmp_eq_f64_e32 vcc_lo, 0, v[0:1]
	s_and_b32 s0, s2, vcc_lo
	s_delay_alu instid0(SALU_CYCLE_1)
	s_and_b32 exec_lo, exec_lo, s0
	s_cbranch_execz .LBB25_40
; %bb.36:
	s_mov_b32 s1, exec_lo
	s_brev_b32 s0, -2
.LBB25_37:                              ; =>This Inner Loop Header: Depth=1
	s_ctz_i32_b32 s2, s1
	s_delay_alu instid0(SALU_CYCLE_1) | instskip(SKIP_1) | instid1(SALU_CYCLE_1)
	v_readlane_b32 s4, v4, s2
	s_lshl_b32 s2, 1, s2
	s_and_not1_b32 s1, s1, s2
	s_min_i32 s0, s0, s4
	s_cmp_lg_u32 s1, 0
	s_cbranch_scc1 .LBB25_37
; %bb.38:
	v_mbcnt_lo_u32_b32 v0, exec_lo, 0
	s_mov_b32 s1, exec_lo
	s_delay_alu instid0(VALU_DEP_1)
	v_cmpx_eq_u32_e32 0, v0
	s_xor_b32 s1, exec_lo, s1
	s_cbranch_execz .LBB25_40
; %bb.39:
	v_dual_mov_b32 v0, 0 :: v_dual_mov_b32 v1, s0
	global_atomic_min_i32 v0, v1, s[16:17] scope:SCOPE_DEV
.LBB25_40:
	s_wait_xcnt 0x0
	s_or_b32 exec_lo, exec_lo, s3
	v_cmp_eq_u32_e32 vcc_lo, 0, v16
	global_wb scope:SCOPE_DEV
	s_wait_storecnt 0x0
	global_inv scope:SCOPE_DEV
	s_and_b32 exec_lo, exec_lo, vcc_lo
	s_cbranch_execz .LBB25_42
; %bb.41:
	v_lshl_add_u64 v[0:1], v[2:3], 2, s[12:13]
	v_mov_b32_e32 v2, 1
	global_wb scope:SCOPE_DEV
	s_wait_loadcnt 0x0
	s_wait_storecnt 0x0
	global_store_b32 v[0:1], v2, off scope:SCOPE_DEV
.LBB25_42:
	s_endpgm
	.section	.rodata,"a",@progbits
	.p2align	6, 0x0
	.amdhsa_kernel _ZN9rocsparseL17csrilu0_binsearchILj256ELj64ELb0EdEEviPKiS2_PT2_S2_PiS2_S5_S5_d21rocsparse_index_base_imNS_24const_host_device_scalarIfEENS7_IdEENS7_IS3_EEb
		.amdhsa_group_segment_fixed_size 0
		.amdhsa_private_segment_fixed_size 0
		.amdhsa_kernarg_size 124
		.amdhsa_user_sgpr_count 2
		.amdhsa_user_sgpr_dispatch_ptr 0
		.amdhsa_user_sgpr_queue_ptr 0
		.amdhsa_user_sgpr_kernarg_segment_ptr 1
		.amdhsa_user_sgpr_dispatch_id 0
		.amdhsa_user_sgpr_kernarg_preload_length 0
		.amdhsa_user_sgpr_kernarg_preload_offset 0
		.amdhsa_user_sgpr_private_segment_size 0
		.amdhsa_wavefront_size32 1
		.amdhsa_uses_dynamic_stack 0
		.amdhsa_enable_private_segment 0
		.amdhsa_system_sgpr_workgroup_id_x 1
		.amdhsa_system_sgpr_workgroup_id_y 0
		.amdhsa_system_sgpr_workgroup_id_z 0
		.amdhsa_system_sgpr_workgroup_info 0
		.amdhsa_system_vgpr_workitem_id 0
		.amdhsa_next_free_vgpr 28
		.amdhsa_next_free_sgpr 31
		.amdhsa_named_barrier_count 0
		.amdhsa_reserve_vcc 1
		.amdhsa_float_round_mode_32 0
		.amdhsa_float_round_mode_16_64 0
		.amdhsa_float_denorm_mode_32 3
		.amdhsa_float_denorm_mode_16_64 3
		.amdhsa_fp16_overflow 0
		.amdhsa_memory_ordered 1
		.amdhsa_forward_progress 1
		.amdhsa_inst_pref_size 13
		.amdhsa_round_robin_scheduling 0
		.amdhsa_exception_fp_ieee_invalid_op 0
		.amdhsa_exception_fp_denorm_src 0
		.amdhsa_exception_fp_ieee_div_zero 0
		.amdhsa_exception_fp_ieee_overflow 0
		.amdhsa_exception_fp_ieee_underflow 0
		.amdhsa_exception_fp_ieee_inexact 0
		.amdhsa_exception_int_div_zero 0
	.end_amdhsa_kernel
	.section	.text._ZN9rocsparseL17csrilu0_binsearchILj256ELj64ELb0EdEEviPKiS2_PT2_S2_PiS2_S5_S5_d21rocsparse_index_base_imNS_24const_host_device_scalarIfEENS7_IdEENS7_IS3_EEb,"axG",@progbits,_ZN9rocsparseL17csrilu0_binsearchILj256ELj64ELb0EdEEviPKiS2_PT2_S2_PiS2_S5_S5_d21rocsparse_index_base_imNS_24const_host_device_scalarIfEENS7_IdEENS7_IS3_EEb,comdat
.Lfunc_end25:
	.size	_ZN9rocsparseL17csrilu0_binsearchILj256ELj64ELb0EdEEviPKiS2_PT2_S2_PiS2_S5_S5_d21rocsparse_index_base_imNS_24const_host_device_scalarIfEENS7_IdEENS7_IS3_EEb, .Lfunc_end25-_ZN9rocsparseL17csrilu0_binsearchILj256ELj64ELb0EdEEviPKiS2_PT2_S2_PiS2_S5_S5_d21rocsparse_index_base_imNS_24const_host_device_scalarIfEENS7_IdEENS7_IS3_EEb
                                        ; -- End function
	.set _ZN9rocsparseL17csrilu0_binsearchILj256ELj64ELb0EdEEviPKiS2_PT2_S2_PiS2_S5_S5_d21rocsparse_index_base_imNS_24const_host_device_scalarIfEENS7_IdEENS7_IS3_EEb.num_vgpr, 28
	.set _ZN9rocsparseL17csrilu0_binsearchILj256ELj64ELb0EdEEviPKiS2_PT2_S2_PiS2_S5_S5_d21rocsparse_index_base_imNS_24const_host_device_scalarIfEENS7_IdEENS7_IS3_EEb.num_agpr, 0
	.set _ZN9rocsparseL17csrilu0_binsearchILj256ELj64ELb0EdEEviPKiS2_PT2_S2_PiS2_S5_S5_d21rocsparse_index_base_imNS_24const_host_device_scalarIfEENS7_IdEENS7_IS3_EEb.numbered_sgpr, 31
	.set _ZN9rocsparseL17csrilu0_binsearchILj256ELj64ELb0EdEEviPKiS2_PT2_S2_PiS2_S5_S5_d21rocsparse_index_base_imNS_24const_host_device_scalarIfEENS7_IdEENS7_IS3_EEb.num_named_barrier, 0
	.set _ZN9rocsparseL17csrilu0_binsearchILj256ELj64ELb0EdEEviPKiS2_PT2_S2_PiS2_S5_S5_d21rocsparse_index_base_imNS_24const_host_device_scalarIfEENS7_IdEENS7_IS3_EEb.private_seg_size, 0
	.set _ZN9rocsparseL17csrilu0_binsearchILj256ELj64ELb0EdEEviPKiS2_PT2_S2_PiS2_S5_S5_d21rocsparse_index_base_imNS_24const_host_device_scalarIfEENS7_IdEENS7_IS3_EEb.uses_vcc, 1
	.set _ZN9rocsparseL17csrilu0_binsearchILj256ELj64ELb0EdEEviPKiS2_PT2_S2_PiS2_S5_S5_d21rocsparse_index_base_imNS_24const_host_device_scalarIfEENS7_IdEENS7_IS3_EEb.uses_flat_scratch, 0
	.set _ZN9rocsparseL17csrilu0_binsearchILj256ELj64ELb0EdEEviPKiS2_PT2_S2_PiS2_S5_S5_d21rocsparse_index_base_imNS_24const_host_device_scalarIfEENS7_IdEENS7_IS3_EEb.has_dyn_sized_stack, 0
	.set _ZN9rocsparseL17csrilu0_binsearchILj256ELj64ELb0EdEEviPKiS2_PT2_S2_PiS2_S5_S5_d21rocsparse_index_base_imNS_24const_host_device_scalarIfEENS7_IdEENS7_IS3_EEb.has_recursion, 0
	.set _ZN9rocsparseL17csrilu0_binsearchILj256ELj64ELb0EdEEviPKiS2_PT2_S2_PiS2_S5_S5_d21rocsparse_index_base_imNS_24const_host_device_scalarIfEENS7_IdEENS7_IS3_EEb.has_indirect_call, 0
	.section	.AMDGPU.csdata,"",@progbits
; Kernel info:
; codeLenInByte = 1636
; TotalNumSgprs: 33
; NumVgprs: 28
; ScratchSize: 0
; MemoryBound: 0
; FloatMode: 240
; IeeeMode: 1
; LDSByteSize: 0 bytes/workgroup (compile time only)
; SGPRBlocks: 0
; VGPRBlocks: 1
; NumSGPRsForWavesPerEU: 33
; NumVGPRsForWavesPerEU: 28
; NamedBarCnt: 0
; Occupancy: 16
; WaveLimiterHint : 1
; COMPUTE_PGM_RSRC2:SCRATCH_EN: 0
; COMPUTE_PGM_RSRC2:USER_SGPR: 2
; COMPUTE_PGM_RSRC2:TRAP_HANDLER: 0
; COMPUTE_PGM_RSRC2:TGID_X_EN: 1
; COMPUTE_PGM_RSRC2:TGID_Y_EN: 0
; COMPUTE_PGM_RSRC2:TGID_Z_EN: 0
; COMPUTE_PGM_RSRC2:TIDIG_COMP_CNT: 0
	.section	.text._ZN9rocsparseL17csrilu0_binsearchILj256ELj64ELb1E21rocsparse_complex_numIfEEEviPKiS4_PT2_S4_PiS4_S7_S7_d21rocsparse_index_base_imNS_24const_host_device_scalarIfEENS9_IdEENS9_IS5_EEb,"axG",@progbits,_ZN9rocsparseL17csrilu0_binsearchILj256ELj64ELb1E21rocsparse_complex_numIfEEEviPKiS4_PT2_S4_PiS4_S7_S7_d21rocsparse_index_base_imNS_24const_host_device_scalarIfEENS9_IdEENS9_IS5_EEb,comdat
	.globl	_ZN9rocsparseL17csrilu0_binsearchILj256ELj64ELb1E21rocsparse_complex_numIfEEEviPKiS4_PT2_S4_PiS4_S7_S7_d21rocsparse_index_base_imNS_24const_host_device_scalarIfEENS9_IdEENS9_IS5_EEb ; -- Begin function _ZN9rocsparseL17csrilu0_binsearchILj256ELj64ELb1E21rocsparse_complex_numIfEEEviPKiS4_PT2_S4_PiS4_S7_S7_d21rocsparse_index_base_imNS_24const_host_device_scalarIfEENS9_IdEENS9_IS5_EEb
	.p2align	8
	.type	_ZN9rocsparseL17csrilu0_binsearchILj256ELj64ELb1E21rocsparse_complex_numIfEEEviPKiS4_PT2_S4_PiS4_S7_S7_d21rocsparse_index_base_imNS_24const_host_device_scalarIfEENS9_IdEENS9_IS5_EEb,@function
_ZN9rocsparseL17csrilu0_binsearchILj256ELj64ELb1E21rocsparse_complex_numIfEEEviPKiS4_PT2_S4_PiS4_S7_S7_d21rocsparse_index_base_imNS_24const_host_device_scalarIfEENS9_IdEENS9_IS5_EEb: ; @_ZN9rocsparseL17csrilu0_binsearchILj256ELj64ELb1E21rocsparse_complex_numIfEEEviPKiS4_PT2_S4_PiS4_S7_S7_d21rocsparse_index_base_imNS_24const_host_device_scalarIfEENS9_IdEENS9_IS5_EEb
; %bb.0:
	s_clause 0x2
	s_load_b32 s2, s[0:1], 0x78
	s_load_b64 s[28:29], s[0:1], 0x50
	s_load_b256 s[20:27], s[0:1], 0x58
	s_wait_kmcnt 0x0
	s_bitcmp1_b32 s2, 0
	s_cselect_b32 s4, -1, 0
	s_cmp_eq_u32 s29, 0
	s_cselect_b32 s2, -1, 0
	s_cmp_lg_u32 s29, 0
	s_cselect_b32 s5, -1, 0
	s_or_b32 s7, s2, s4
	s_delay_alu instid0(SALU_CYCLE_1)
	s_xor_b32 s6, s7, -1
	s_and_b32 s2, s2, exec_lo
	s_cselect_b32 s3, 0, s25
	s_cselect_b32 s2, 0, s24
	;; [unrolled: 1-line block ×3, first 2 shown]
	s_and_b32 vcc_lo, exec_lo, s7
	s_cbranch_vccnz .LBB26_2
; %bb.1:
	s_load_b32 s29, s[22:23], 0x0
	s_mov_b64 s[2:3], s[24:25]
.LBB26_2:
	s_delay_alu instid0(SALU_CYCLE_1)
	v_mov_b64_e32 v[4:5], s[2:3]
	s_and_not1_b32 vcc_lo, exec_lo, s6
	s_cbranch_vccnz .LBB26_4
; %bb.3:
	v_mov_b32_e32 v1, 0
	flat_load_b64 v[4:5], v1, s[24:25]
.LBB26_4:
	v_cndmask_b32_e64 v15, 0, 1, s5
	s_mov_b32 s3, 0
	s_and_not1_b32 vcc_lo, exec_lo, s5
	s_wait_xcnt 0x0
	s_mov_b32 s22, 0
	s_cbranch_vccnz .LBB26_10
; %bb.5:
	s_xor_b32 s2, s4, -1
	s_mov_b32 s3, s26
	v_cndmask_b32_e64 v1, 0, 1, s2
	s_and_not1_b32 vcc_lo, exec_lo, s2
	s_cbranch_vccnz .LBB26_7
; %bb.6:
	s_load_b32 s3, s[26:27], 0x0
.LBB26_7:
	s_delay_alu instid0(VALU_DEP_1)
	v_cmp_ne_u32_e32 vcc_lo, 1, v1
	s_cbranch_vccnz .LBB26_9
; %bb.8:
	s_wait_xcnt 0x0
	s_load_b32 s27, s[26:27], 0x4
.LBB26_9:
	s_wait_kmcnt 0x0
	s_mov_b32 s22, s27
.LBB26_10:
	s_load_b32 s2, s[0:1], 0x0
	s_bfe_u32 s4, ttmp6, 0x4000c
	s_and_b32 s5, ttmp6, 15
	s_add_co_i32 s4, s4, 1
	s_getreg_b32 s6, hwreg(HW_REG_IB_STS2, 6, 4)
	s_mul_i32 s4, ttmp9, s4
	v_lshrrev_b32_e32 v1, 6, v0
	s_add_co_i32 s5, s5, s4
	s_cmp_eq_u32 s6, 0
	s_cselect_b32 s4, ttmp9, s5
	s_delay_alu instid0(SALU_CYCLE_1) | instskip(NEXT) | instid1(SALU_CYCLE_1)
	s_lshl_b32 s4, s4, 2
	v_and_or_b32 v1, 0x3fffffc, s4, v1
	s_wait_kmcnt 0x0
	s_delay_alu instid0(VALU_DEP_1)
	v_cmp_gt_i32_e32 vcc_lo, s2, v1
	s_and_saveexec_b32 s2, vcc_lo
	s_cbranch_execz .LBB26_54
; %bb.11:
	s_load_b512 s[4:19], s[0:1], 0x8
	s_wait_kmcnt 0x0
	global_load_b32 v2, v1, s[14:15] scale_offset
	v_and_b32_e32 v14, 63, v0
	s_wait_xcnt 0x0
	s_mov_b32 s14, exec_lo
	s_wait_loadcnt 0x0
	s_clause 0x1
	global_load_b32 v1, v2, s[4:5] scale_offset
	global_load_b32 v6, v2, s[10:11] scale_offset
	v_ashrrev_i32_e32 v3, 31, v2
	s_wait_loadcnt 0x1
	v_subrev_nc_u32_e32 v8, s28, v1
	s_wait_loadcnt 0x0
	s_delay_alu instid0(VALU_DEP_1)
	v_cmpx_lt_i32_e64 v8, v6
	s_cbranch_execz .LBB26_30
; %bb.12:
	v_lshl_add_u64 v[0:1], v[2:3], 2, s[4:5]
	v_add_nc_u32_e32 v7, 1, v14
	s_mov_b32 s15, 0
	global_load_b32 v0, v[0:1], off offset:4
	s_wait_loadcnt 0x0
	v_xad_u32 v16, s28, -1, v0
	s_branch .LBB26_15
.LBB26_13:                              ;   in Loop: Header=BB26_15 Depth=1
	s_or_b32 exec_lo, exec_lo, s23
	v_cmp_ge_i32_e32 vcc_lo, v8, v6
	s_or_not1_b32 s23, vcc_lo, exec_lo
.LBB26_14:                              ;   in Loop: Header=BB26_15 Depth=1
	s_or_b32 exec_lo, exec_lo, s2
	s_delay_alu instid0(SALU_CYCLE_1) | instskip(NEXT) | instid1(SALU_CYCLE_1)
	s_and_b32 s2, exec_lo, s23
	s_or_b32 s15, s2, s15
	s_delay_alu instid0(SALU_CYCLE_1)
	s_and_not1_b32 exec_lo, exec_lo, s15
	s_cbranch_execz .LBB26_30
.LBB26_15:                              ; =>This Loop Header: Depth=1
                                        ;     Child Loop BB26_18 Depth 2
                                        ;       Child Loop BB26_19 Depth 3
                                        ;     Child Loop BB26_24 Depth 2
                                        ;       Child Loop BB26_26 Depth 3
	s_clause 0x1
	global_load_b32 v9, v8, s[6:7] scale_offset
	global_load_b64 v[0:1], v8, s[8:9] scale_offset
	s_mov_b32 s2, exec_lo
	s_wait_loadcnt 0x1
	v_subrev_nc_u32_e32 v10, s28, v9
	s_clause 0x2
	global_load_b32 v18, v10, s[4:5] offset:4 scale_offset
	global_load_b32 v17, v10, s[10:11] scale_offset
	global_load_b32 v9, v10, s[12:13] scale_offset scope:SCOPE_DEV
	s_wait_loadcnt 0x0
	s_wait_xcnt 0x0
	v_cmpx_eq_u32_e32 0, v9
	s_cbranch_execz .LBB26_20
; %bb.16:                               ;   in Loop: Header=BB26_15 Depth=1
	v_ashrrev_i32_e32 v11, 31, v10
	s_mov_b32 s23, 0
	s_mov_b32 s24, 0
	s_delay_alu instid0(VALU_DEP_1)
	v_lshl_add_u64 v[10:11], v[10:11], 2, s[12:13]
	s_branch .LBB26_18
.LBB26_17:                              ;   in Loop: Header=BB26_18 Depth=2
	global_load_b32 v9, v[10:11], off scope:SCOPE_DEV
	s_cmp_lt_u32 s24, 0xf43
	s_cselect_b32 s25, -1, 0
	s_delay_alu instid0(SALU_CYCLE_1)
	s_cmp_lg_u32 s25, 0
	s_add_co_ci_u32 s24, s24, 0
	s_wait_loadcnt 0x0
	v_cmp_ne_u32_e32 vcc_lo, 0, v9
	s_or_b32 s23, vcc_lo, s23
	s_wait_xcnt 0x0
	s_and_not1_b32 exec_lo, exec_lo, s23
	s_cbranch_execz .LBB26_20
.LBB26_18:                              ;   Parent Loop BB26_15 Depth=1
                                        ; =>  This Loop Header: Depth=2
                                        ;       Child Loop BB26_19 Depth 3
	s_cmp_eq_u32 s24, 0
	s_mov_b32 s25, s24
	s_cbranch_scc1 .LBB26_17
.LBB26_19:                              ;   Parent Loop BB26_15 Depth=1
                                        ;     Parent Loop BB26_18 Depth=2
                                        ; =>    This Inner Loop Header: Depth=3
	s_add_co_i32 s25, s25, -1
	s_sleep 1
	s_cmp_eq_u32 s25, 0
	s_cbranch_scc0 .LBB26_19
	s_branch .LBB26_17
.LBB26_20:                              ;   in Loop: Header=BB26_15 Depth=1
	s_or_b32 exec_lo, exec_lo, s2
	v_cmp_eq_u32_e32 vcc_lo, -1, v17
	v_ashrrev_i32_e32 v9, 31, v8
	s_wait_dscnt 0x0
	global_inv scope:SCOPE_DEV
	s_mov_b32 s23, -1
	v_lshl_add_u64 v[12:13], v[8:9], 3, s[8:9]
	v_subrev_nc_u32_e32 v9, s28, v18
	s_delay_alu instid0(VALU_DEP_1) | instskip(NEXT) | instid1(VALU_DEP_1)
	v_add_nc_u32_e32 v10, -1, v9
	v_cndmask_b32_e32 v17, v17, v10, vcc_lo
	global_load_b64 v[10:11], v17, s[8:9] scale_offset
	s_wait_loadcnt 0x0
	v_cmp_neq_f32_e32 vcc_lo, 0, v10
	v_cmp_neq_f32_e64 s2, 0, v11
	s_or_b32 s2, vcc_lo, s2
	s_wait_xcnt 0x0
	s_and_saveexec_b32 s24, s2
	s_delay_alu instid0(SALU_CYCLE_1)
	s_xor_b32 s2, exec_lo, s24
	s_cbranch_execz .LBB26_14
; %bb.21:                               ;   in Loop: Header=BB26_15 Depth=1
	v_mul_f32_e32 v20, v11, v11
	s_mov_b32 s23, exec_lo
	s_delay_alu instid0(VALU_DEP_1) | instskip(NEXT) | instid1(VALU_DEP_1)
	v_dual_add_nc_u32 v8, 1, v8 :: v_dual_fmac_f32 v20, v10, v10
	v_div_scale_f32 v19, null, v20, v20, 1.0
	v_div_scale_f32 v22, vcc_lo, 1.0, v20, 1.0
	s_delay_alu instid0(VALU_DEP_2) | instskip(SKIP_1) | instid1(TRANS32_DEP_1)
	v_rcp_f32_e32 v21, v19
	v_nop
	v_fma_f32 v18, -v19, v21, 1.0
	s_delay_alu instid0(VALU_DEP_1) | instskip(NEXT) | instid1(VALU_DEP_1)
	v_fmac_f32_e32 v21, v18, v21
	v_mul_f32_e32 v23, v22, v21
	s_delay_alu instid0(VALU_DEP_1) | instskip(NEXT) | instid1(VALU_DEP_1)
	v_fma_f32 v18, -v19, v23, v22
	v_dual_fmac_f32 v23, v18, v21 :: v_dual_mov_b32 v18, v11
	s_delay_alu instid0(VALU_DEP_1) | instskip(NEXT) | instid1(VALU_DEP_2)
	v_fma_f32 v11, -v19, v23, v22
	v_pk_mul_f32 v[18:19], v[0:1], v[18:19] op_sel:[1,0] op_sel_hi:[0,0] neg_hi:[1,0]
	s_delay_alu instid0(VALU_DEP_2) | instskip(NEXT) | instid1(VALU_DEP_2)
	v_div_fmas_f32 v21, v11, v21, v23
	v_pk_fma_f32 v[10:11], v[0:1], v[10:11], v[18:19] op_sel_hi:[1,0,1]
	v_add_nc_u32_e32 v0, v7, v17
	s_delay_alu instid0(VALU_DEP_3) | instskip(NEXT) | instid1(VALU_DEP_1)
	v_div_fixup_f32 v18, v21, v20, 1.0
	v_pk_mul_f32 v[10:11], v[10:11], v[18:19] op_sel_hi:[1,0]
	global_store_b64 v[12:13], v[10:11], off
	s_wait_xcnt 0x0
	v_cmpx_lt_i32_e64 v0, v9
	s_cbranch_execz .LBB26_13
; %bb.22:                               ;   in Loop: Header=BB26_15 Depth=1
	v_xor_b32_e32 v13, 0x80000000, v10
	v_dual_mov_b32 v12, v11 :: v_dual_mov_b32 v17, v8
	s_mov_b32 s24, 0
	s_branch .LBB26_24
.LBB26_23:                              ;   in Loop: Header=BB26_24 Depth=2
	s_wait_xcnt 0x0
	s_or_b32 exec_lo, exec_lo, s25
	v_add_nc_u32_e32 v0, 64, v0
	s_delay_alu instid0(VALU_DEP_1) | instskip(SKIP_1) | instid1(SALU_CYCLE_1)
	v_cmp_ge_i32_e32 vcc_lo, v0, v9
	s_or_b32 s24, vcc_lo, s24
	s_and_not1_b32 exec_lo, exec_lo, s24
	s_cbranch_execz .LBB26_13
.LBB26_24:                              ;   Parent Loop BB26_15 Depth=1
                                        ; =>  This Loop Header: Depth=2
                                        ;       Child Loop BB26_26 Depth 3
	s_delay_alu instid0(VALU_DEP_1) | instskip(SKIP_1) | instid1(VALU_DEP_1)
	v_add_nc_u32_e32 v1, v17, v16
	s_mov_b32 s25, exec_lo
	v_ashrrev_i32_e32 v1, 1, v1
	s_clause 0x1
	global_load_b32 v18, v0, s[6:7] scale_offset
	global_load_b32 v19, v1, s[6:7] scale_offset
	s_wait_xcnt 0x0
	v_cmpx_lt_i32_e64 v17, v16
	s_cbranch_execz .LBB26_28
; %bb.25:                               ;   in Loop: Header=BB26_24 Depth=2
	v_mov_b32_e32 v20, v16
	s_mov_b32 s26, 0
.LBB26_26:                              ;   Parent Loop BB26_15 Depth=1
                                        ;     Parent Loop BB26_24 Depth=2
                                        ; =>    This Inner Loop Header: Depth=3
	s_wait_loadcnt 0x0
	v_cmp_lt_i32_e32 vcc_lo, v19, v18
	s_delay_alu instid0(VALU_DEP_2) | instskip(NEXT) | instid1(VALU_DEP_1)
	v_dual_cndmask_b32 v20, v1, v20 :: v_dual_add_nc_u32 v21, 1, v1
	v_cndmask_b32_e32 v17, v17, v21, vcc_lo
	s_delay_alu instid0(VALU_DEP_1) | instskip(SKIP_1) | instid1(VALU_DEP_2)
	v_add_nc_u32_e32 v1, v20, v17
	v_cmp_ge_i32_e32 vcc_lo, v17, v20
	v_ashrrev_i32_e32 v1, 1, v1
	s_or_b32 s26, vcc_lo, s26
	global_load_b32 v19, v1, s[6:7] scale_offset
	s_wait_xcnt 0x0
	s_and_not1_b32 exec_lo, exec_lo, s26
	s_cbranch_execnz .LBB26_26
; %bb.27:                               ;   in Loop: Header=BB26_24 Depth=2
	s_or_b32 exec_lo, exec_lo, s26
.LBB26_28:                              ;   in Loop: Header=BB26_24 Depth=2
	s_delay_alu instid0(SALU_CYCLE_1)
	s_or_b32 exec_lo, exec_lo, s25
	v_ashrrev_i32_e32 v1, 31, v0
	s_mov_b32 s25, exec_lo
	s_wait_loadcnt 0x0
	v_cmpx_eq_u32_e64 v19, v18
	s_cbranch_execz .LBB26_23
; %bb.29:                               ;   in Loop: Header=BB26_24 Depth=2
	v_lshl_add_u64 v[18:19], v[0:1], 3, s[8:9]
	s_clause 0x1
	global_load_b64 v[20:21], v[18:19], off
	global_load_b64 v[22:23], v17, s[8:9] scale_offset
	s_wait_loadcnt 0x0
	s_wait_xcnt 0x1
	v_pk_fma_f32 v[18:19], v[10:11], v[20:21], v[22:23] op_sel_hi:[1,0,1] neg_lo:[1,0,0] neg_hi:[1,0,0]
	s_delay_alu instid0(VALU_DEP_1)
	v_pk_fma_f32 v[18:19], v[12:13], v[20:21], v[18:19] op_sel:[0,1,0]
	global_store_b64 v17, v[18:19], s[8:9] scale_offset
	s_branch .LBB26_23
.LBB26_30:
	s_or_b32 exec_lo, exec_lo, s14
	s_delay_alu instid0(SALU_CYCLE_1)
	s_mov_b32 s4, exec_lo
	s_wait_storecnt_dscnt 0x0
	v_cmpx_lt_i32_e32 -1, v6
	s_cbranch_execz .LBB26_52
; %bb.31:
	global_load_b64 v[0:1], v6, s[8:9] scale_offset
	v_mov_b32_e32 v7, 0
                                        ; implicit-def: $vgpr10
	s_mov_b32 s2, exec_lo
	s_wait_loadcnt 0x0
	v_cmp_gt_f32_e32 vcc_lo, 0, v0
	v_cndmask_b32_e64 v8, v0, -v0, vcc_lo
	v_cmp_gt_f32_e32 vcc_lo, 0, v1
	v_cndmask_b32_e64 v9, v1, -v1, vcc_lo
	s_delay_alu instid0(VALU_DEP_1)
	v_cmpx_ngt_f32_e32 v8, v9
	s_xor_b32 s5, exec_lo, s2
	s_cbranch_execz .LBB26_35
; %bb.32:
	v_mov_b32_e32 v10, 0
	s_mov_b32 s6, exec_lo
	v_cmpx_neq_f32_e32 0, v1
	s_cbranch_execz .LBB26_34
; %bb.33:
	v_div_scale_f32 v10, null, v9, v9, v8
	v_div_scale_f32 v13, vcc_lo, v8, v9, v8
	s_delay_alu instid0(VALU_DEP_2) | instskip(SKIP_1) | instid1(TRANS32_DEP_1)
	v_rcp_f32_e32 v11, v10
	v_nop
	v_fma_f32 v12, -v10, v11, 1.0
	s_delay_alu instid0(VALU_DEP_1) | instskip(NEXT) | instid1(VALU_DEP_1)
	v_fmac_f32_e32 v11, v12, v11
	v_mul_f32_e32 v12, v13, v11
	s_delay_alu instid0(VALU_DEP_1) | instskip(NEXT) | instid1(VALU_DEP_1)
	v_fma_f32 v16, -v10, v12, v13
	v_fmac_f32_e32 v12, v16, v11
	s_delay_alu instid0(VALU_DEP_1) | instskip(NEXT) | instid1(VALU_DEP_1)
	v_fma_f32 v10, -v10, v12, v13
	v_div_fmas_f32 v10, v10, v11, v12
	s_delay_alu instid0(VALU_DEP_1) | instskip(NEXT) | instid1(VALU_DEP_1)
	v_div_fixup_f32 v8, v10, v9, v8
	v_fma_f32 v8, v8, v8, 1.0
	s_delay_alu instid0(VALU_DEP_1) | instskip(SKIP_1) | instid1(VALU_DEP_2)
	v_mul_f32_e32 v10, 0x4f800000, v8
	v_cmp_gt_f32_e32 vcc_lo, 0xf800000, v8
	v_cndmask_b32_e32 v8, v8, v10, vcc_lo
	s_delay_alu instid0(VALU_DEP_1) | instskip(SKIP_1) | instid1(TRANS32_DEP_1)
	v_sqrt_f32_e32 v10, v8
	v_nop
	v_dual_add_nc_u32 v11, -1, v10 :: v_dual_add_nc_u32 v12, 1, v10
	s_delay_alu instid0(VALU_DEP_1) | instskip(NEXT) | instid1(VALU_DEP_1)
	v_fma_f32 v13, -v11, v10, v8
	v_cmp_ge_f32_e64 s2, 0, v13
	s_delay_alu instid0(VALU_DEP_1) | instskip(NEXT) | instid1(VALU_DEP_1)
	v_dual_fma_f32 v16, -v12, v10, v8 :: v_dual_cndmask_b32 v10, v10, v11, s2
	v_cmp_lt_f32_e64 s2, 0, v16
	s_delay_alu instid0(VALU_DEP_1) | instskip(NEXT) | instid1(VALU_DEP_1)
	v_cndmask_b32_e64 v10, v10, v12, s2
	v_mul_f32_e32 v11, 0x37800000, v10
	s_delay_alu instid0(VALU_DEP_1) | instskip(SKIP_1) | instid1(VALU_DEP_2)
	v_cndmask_b32_e32 v10, v10, v11, vcc_lo
	v_cmp_class_f32_e64 vcc_lo, v8, 0x260
	v_cndmask_b32_e32 v8, v10, v8, vcc_lo
	s_delay_alu instid0(VALU_DEP_1)
	v_mul_f32_e32 v10, v9, v8
.LBB26_34:
	s_or_b32 exec_lo, exec_lo, s6
                                        ; implicit-def: $vgpr8
                                        ; implicit-def: $vgpr9
.LBB26_35:
	s_and_not1_saveexec_b32 s5, s5
	s_cbranch_execz .LBB26_37
; %bb.36:
	v_div_scale_f32 v10, null, v8, v8, v9
	v_div_scale_f32 v13, vcc_lo, v9, v8, v9
	s_delay_alu instid0(VALU_DEP_2) | instskip(SKIP_1) | instid1(TRANS32_DEP_1)
	v_rcp_f32_e32 v11, v10
	v_nop
	v_fma_f32 v12, -v10, v11, 1.0
	s_delay_alu instid0(VALU_DEP_1) | instskip(NEXT) | instid1(VALU_DEP_1)
	v_fmac_f32_e32 v11, v12, v11
	v_mul_f32_e32 v12, v13, v11
	s_delay_alu instid0(VALU_DEP_1) | instskip(NEXT) | instid1(VALU_DEP_1)
	v_fma_f32 v16, -v10, v12, v13
	v_fmac_f32_e32 v12, v16, v11
	s_delay_alu instid0(VALU_DEP_1) | instskip(NEXT) | instid1(VALU_DEP_1)
	v_fma_f32 v10, -v10, v12, v13
	v_div_fmas_f32 v10, v10, v11, v12
	s_delay_alu instid0(VALU_DEP_1) | instskip(NEXT) | instid1(VALU_DEP_1)
	v_div_fixup_f32 v9, v10, v8, v9
	v_fma_f32 v9, v9, v9, 1.0
	s_delay_alu instid0(VALU_DEP_1) | instskip(SKIP_1) | instid1(VALU_DEP_2)
	v_mul_f32_e32 v10, 0x4f800000, v9
	v_cmp_gt_f32_e32 vcc_lo, 0xf800000, v9
	v_cndmask_b32_e32 v9, v9, v10, vcc_lo
	s_delay_alu instid0(VALU_DEP_1) | instskip(SKIP_1) | instid1(TRANS32_DEP_1)
	v_sqrt_f32_e32 v10, v9
	v_nop
	v_dual_add_nc_u32 v11, -1, v10 :: v_dual_add_nc_u32 v12, 1, v10
	s_delay_alu instid0(VALU_DEP_1) | instskip(NEXT) | instid1(VALU_DEP_1)
	v_fma_f32 v13, -v11, v10, v9
	v_cmp_ge_f32_e64 s2, 0, v13
	s_delay_alu instid0(VALU_DEP_1) | instskip(NEXT) | instid1(VALU_DEP_1)
	v_dual_fma_f32 v16, -v12, v10, v9 :: v_dual_cndmask_b32 v10, v10, v11, s2
	v_cmp_lt_f32_e64 s2, 0, v16
	s_delay_alu instid0(VALU_DEP_1) | instskip(NEXT) | instid1(VALU_DEP_1)
	v_cndmask_b32_e64 v10, v10, v12, s2
	v_mul_f32_e32 v11, 0x37800000, v10
	s_delay_alu instid0(VALU_DEP_1) | instskip(SKIP_1) | instid1(VALU_DEP_2)
	v_cndmask_b32_e32 v10, v10, v11, vcc_lo
	v_cmp_class_f32_e64 vcc_lo, v9, 0x260
	v_cndmask_b32_e32 v9, v10, v9, vcc_lo
	s_delay_alu instid0(VALU_DEP_1)
	v_mul_f32_e32 v10, v8, v9
.LBB26_37:
	s_or_b32 exec_lo, exec_lo, s5
	s_delay_alu instid0(VALU_DEP_1)
	v_cvt_f64_f32_e32 v[8:9], v10
	v_cmp_ne_u32_e32 vcc_lo, 1, v15
	v_cmp_eq_u32_e64 s2, 0, v14
	s_mov_b32 s5, -1
	s_cbranch_vccnz .LBB26_41
; %bb.38:
	v_cvt_f64_f32_e32 v[10:11], s29
	s_cmp_eq_u64 s[20:21], 8
	s_cselect_b32 vcc_lo, -1, 0
	s_delay_alu instid0(VALU_DEP_1) | instskip(NEXT) | instid1(VALU_DEP_1)
	v_dual_cndmask_b32 v5, v11, v5 :: v_dual_cndmask_b32 v4, v10, v4
	v_cmp_ge_f64_e32 vcc_lo, v[4:5], v[8:9]
	s_and_b32 s6, s2, vcc_lo
	s_delay_alu instid0(SALU_CYCLE_1)
	s_and_saveexec_b32 s5, s6
	s_cbranch_execz .LBB26_40
; %bb.39:
	v_lshl_add_u64 v[4:5], v[6:7], 3, s[8:9]
	v_dual_mov_b32 v6, s3 :: v_dual_mov_b32 v7, s22
	global_store_b64 v[4:5], v[6:7], off
.LBB26_40:
	s_wait_xcnt 0x0
	s_or_b32 exec_lo, exec_lo, s5
	s_mov_b32 s5, 0
.LBB26_41:
	s_delay_alu instid0(SALU_CYCLE_1)
	s_and_not1_b32 vcc_lo, exec_lo, s5
	s_cbranch_vccnz .LBB26_52
; %bb.42:
	s_load_b64 s[0:1], s[0:1], 0x48
	v_add_nc_u32_e32 v4, s28, v2
	s_wait_kmcnt 0x0
	v_cmp_ge_f64_e32 vcc_lo, s[0:1], v[8:9]
	s_and_b32 s1, s2, vcc_lo
	s_delay_alu instid0(SALU_CYCLE_1)
	s_and_saveexec_b32 s0, s1
	s_cbranch_execz .LBB26_47
; %bb.43:
	s_mov_b32 s3, exec_lo
	s_brev_b32 s1, -2
.LBB26_44:                              ; =>This Inner Loop Header: Depth=1
	s_ctz_i32_b32 s5, s3
	s_delay_alu instid0(SALU_CYCLE_1) | instskip(SKIP_1) | instid1(SALU_CYCLE_1)
	v_readlane_b32 s6, v4, s5
	s_lshl_b32 s5, 1, s5
	s_and_not1_b32 s3, s3, s5
	s_min_i32 s1, s1, s6
	s_cmp_lg_u32 s3, 0
	s_cbranch_scc1 .LBB26_44
; %bb.45:
	v_mbcnt_lo_u32_b32 v5, exec_lo, 0
	s_mov_b32 s3, exec_lo
	s_delay_alu instid0(VALU_DEP_1)
	v_cmpx_eq_u32_e32 0, v5
	s_xor_b32 s3, exec_lo, s3
	s_cbranch_execz .LBB26_47
; %bb.46:
	v_dual_mov_b32 v5, 0 :: v_dual_mov_b32 v6, s1
	global_atomic_min_i32 v5, v6, s[18:19] scope:SCOPE_DEV
.LBB26_47:
	s_wait_xcnt 0x0
	s_or_b32 exec_lo, exec_lo, s0
	v_cmp_eq_f32_e32 vcc_lo, 0, v0
	v_cmp_eq_f32_e64 s0, 0, v1
	s_and_b32 s0, vcc_lo, s0
	s_delay_alu instid0(SALU_CYCLE_1) | instskip(NEXT) | instid1(SALU_CYCLE_1)
	s_and_b32 s0, s2, s0
	s_and_b32 exec_lo, exec_lo, s0
	s_cbranch_execz .LBB26_52
; %bb.48:
	s_mov_b32 s1, exec_lo
	s_brev_b32 s0, -2
.LBB26_49:                              ; =>This Inner Loop Header: Depth=1
	s_ctz_i32_b32 s2, s1
	s_delay_alu instid0(SALU_CYCLE_1) | instskip(SKIP_1) | instid1(SALU_CYCLE_1)
	v_readlane_b32 s3, v4, s2
	s_lshl_b32 s2, 1, s2
	s_and_not1_b32 s1, s1, s2
	s_min_i32 s0, s0, s3
	s_cmp_lg_u32 s1, 0
	s_cbranch_scc1 .LBB26_49
; %bb.50:
	v_mbcnt_lo_u32_b32 v0, exec_lo, 0
	s_mov_b32 s1, exec_lo
	s_delay_alu instid0(VALU_DEP_1)
	v_cmpx_eq_u32_e32 0, v0
	s_xor_b32 s1, exec_lo, s1
	s_cbranch_execz .LBB26_52
; %bb.51:
	v_dual_mov_b32 v0, 0 :: v_dual_mov_b32 v1, s0
	global_atomic_min_i32 v0, v1, s[16:17] scope:SCOPE_DEV
.LBB26_52:
	s_wait_xcnt 0x0
	s_or_b32 exec_lo, exec_lo, s4
	v_cmp_eq_u32_e32 vcc_lo, 0, v14
	global_wb scope:SCOPE_DEV
	s_wait_storecnt 0x0
	global_inv scope:SCOPE_DEV
	s_and_b32 exec_lo, exec_lo, vcc_lo
	s_cbranch_execz .LBB26_54
; %bb.53:
	v_lshl_add_u64 v[0:1], v[2:3], 2, s[12:13]
	v_mov_b32_e32 v2, 1
	global_wb scope:SCOPE_DEV
	s_wait_loadcnt 0x0
	s_wait_storecnt 0x0
	global_store_b32 v[0:1], v2, off scope:SCOPE_DEV
.LBB26_54:
	s_endpgm
	.section	.rodata,"a",@progbits
	.p2align	6, 0x0
	.amdhsa_kernel _ZN9rocsparseL17csrilu0_binsearchILj256ELj64ELb1E21rocsparse_complex_numIfEEEviPKiS4_PT2_S4_PiS4_S7_S7_d21rocsparse_index_base_imNS_24const_host_device_scalarIfEENS9_IdEENS9_IS5_EEb
		.amdhsa_group_segment_fixed_size 0
		.amdhsa_private_segment_fixed_size 0
		.amdhsa_kernarg_size 124
		.amdhsa_user_sgpr_count 2
		.amdhsa_user_sgpr_dispatch_ptr 0
		.amdhsa_user_sgpr_queue_ptr 0
		.amdhsa_user_sgpr_kernarg_segment_ptr 1
		.amdhsa_user_sgpr_dispatch_id 0
		.amdhsa_user_sgpr_kernarg_preload_length 0
		.amdhsa_user_sgpr_kernarg_preload_offset 0
		.amdhsa_user_sgpr_private_segment_size 0
		.amdhsa_wavefront_size32 1
		.amdhsa_uses_dynamic_stack 0
		.amdhsa_enable_private_segment 0
		.amdhsa_system_sgpr_workgroup_id_x 1
		.amdhsa_system_sgpr_workgroup_id_y 0
		.amdhsa_system_sgpr_workgroup_id_z 0
		.amdhsa_system_sgpr_workgroup_info 0
		.amdhsa_system_vgpr_workitem_id 0
		.amdhsa_next_free_vgpr 24
		.amdhsa_next_free_sgpr 30
		.amdhsa_named_barrier_count 0
		.amdhsa_reserve_vcc 1
		.amdhsa_float_round_mode_32 0
		.amdhsa_float_round_mode_16_64 0
		.amdhsa_float_denorm_mode_32 3
		.amdhsa_float_denorm_mode_16_64 3
		.amdhsa_fp16_overflow 0
		.amdhsa_memory_ordered 1
		.amdhsa_forward_progress 1
		.amdhsa_inst_pref_size 19
		.amdhsa_round_robin_scheduling 0
		.amdhsa_exception_fp_ieee_invalid_op 0
		.amdhsa_exception_fp_denorm_src 0
		.amdhsa_exception_fp_ieee_div_zero 0
		.amdhsa_exception_fp_ieee_overflow 0
		.amdhsa_exception_fp_ieee_underflow 0
		.amdhsa_exception_fp_ieee_inexact 0
		.amdhsa_exception_int_div_zero 0
	.end_amdhsa_kernel
	.section	.text._ZN9rocsparseL17csrilu0_binsearchILj256ELj64ELb1E21rocsparse_complex_numIfEEEviPKiS4_PT2_S4_PiS4_S7_S7_d21rocsparse_index_base_imNS_24const_host_device_scalarIfEENS9_IdEENS9_IS5_EEb,"axG",@progbits,_ZN9rocsparseL17csrilu0_binsearchILj256ELj64ELb1E21rocsparse_complex_numIfEEEviPKiS4_PT2_S4_PiS4_S7_S7_d21rocsparse_index_base_imNS_24const_host_device_scalarIfEENS9_IdEENS9_IS5_EEb,comdat
.Lfunc_end26:
	.size	_ZN9rocsparseL17csrilu0_binsearchILj256ELj64ELb1E21rocsparse_complex_numIfEEEviPKiS4_PT2_S4_PiS4_S7_S7_d21rocsparse_index_base_imNS_24const_host_device_scalarIfEENS9_IdEENS9_IS5_EEb, .Lfunc_end26-_ZN9rocsparseL17csrilu0_binsearchILj256ELj64ELb1E21rocsparse_complex_numIfEEEviPKiS4_PT2_S4_PiS4_S7_S7_d21rocsparse_index_base_imNS_24const_host_device_scalarIfEENS9_IdEENS9_IS5_EEb
                                        ; -- End function
	.set _ZN9rocsparseL17csrilu0_binsearchILj256ELj64ELb1E21rocsparse_complex_numIfEEEviPKiS4_PT2_S4_PiS4_S7_S7_d21rocsparse_index_base_imNS_24const_host_device_scalarIfEENS9_IdEENS9_IS5_EEb.num_vgpr, 24
	.set _ZN9rocsparseL17csrilu0_binsearchILj256ELj64ELb1E21rocsparse_complex_numIfEEEviPKiS4_PT2_S4_PiS4_S7_S7_d21rocsparse_index_base_imNS_24const_host_device_scalarIfEENS9_IdEENS9_IS5_EEb.num_agpr, 0
	.set _ZN9rocsparseL17csrilu0_binsearchILj256ELj64ELb1E21rocsparse_complex_numIfEEEviPKiS4_PT2_S4_PiS4_S7_S7_d21rocsparse_index_base_imNS_24const_host_device_scalarIfEENS9_IdEENS9_IS5_EEb.numbered_sgpr, 30
	.set _ZN9rocsparseL17csrilu0_binsearchILj256ELj64ELb1E21rocsparse_complex_numIfEEEviPKiS4_PT2_S4_PiS4_S7_S7_d21rocsparse_index_base_imNS_24const_host_device_scalarIfEENS9_IdEENS9_IS5_EEb.num_named_barrier, 0
	.set _ZN9rocsparseL17csrilu0_binsearchILj256ELj64ELb1E21rocsparse_complex_numIfEEEviPKiS4_PT2_S4_PiS4_S7_S7_d21rocsparse_index_base_imNS_24const_host_device_scalarIfEENS9_IdEENS9_IS5_EEb.private_seg_size, 0
	.set _ZN9rocsparseL17csrilu0_binsearchILj256ELj64ELb1E21rocsparse_complex_numIfEEEviPKiS4_PT2_S4_PiS4_S7_S7_d21rocsparse_index_base_imNS_24const_host_device_scalarIfEENS9_IdEENS9_IS5_EEb.uses_vcc, 1
	.set _ZN9rocsparseL17csrilu0_binsearchILj256ELj64ELb1E21rocsparse_complex_numIfEEEviPKiS4_PT2_S4_PiS4_S7_S7_d21rocsparse_index_base_imNS_24const_host_device_scalarIfEENS9_IdEENS9_IS5_EEb.uses_flat_scratch, 0
	.set _ZN9rocsparseL17csrilu0_binsearchILj256ELj64ELb1E21rocsparse_complex_numIfEEEviPKiS4_PT2_S4_PiS4_S7_S7_d21rocsparse_index_base_imNS_24const_host_device_scalarIfEENS9_IdEENS9_IS5_EEb.has_dyn_sized_stack, 0
	.set _ZN9rocsparseL17csrilu0_binsearchILj256ELj64ELb1E21rocsparse_complex_numIfEEEviPKiS4_PT2_S4_PiS4_S7_S7_d21rocsparse_index_base_imNS_24const_host_device_scalarIfEENS9_IdEENS9_IS5_EEb.has_recursion, 0
	.set _ZN9rocsparseL17csrilu0_binsearchILj256ELj64ELb1E21rocsparse_complex_numIfEEEviPKiS4_PT2_S4_PiS4_S7_S7_d21rocsparse_index_base_imNS_24const_host_device_scalarIfEENS9_IdEENS9_IS5_EEb.has_indirect_call, 0
	.section	.AMDGPU.csdata,"",@progbits
; Kernel info:
; codeLenInByte = 2412
; TotalNumSgprs: 32
; NumVgprs: 24
; ScratchSize: 0
; MemoryBound: 0
; FloatMode: 240
; IeeeMode: 1
; LDSByteSize: 0 bytes/workgroup (compile time only)
; SGPRBlocks: 0
; VGPRBlocks: 1
; NumSGPRsForWavesPerEU: 32
; NumVGPRsForWavesPerEU: 24
; NamedBarCnt: 0
; Occupancy: 16
; WaveLimiterHint : 1
; COMPUTE_PGM_RSRC2:SCRATCH_EN: 0
; COMPUTE_PGM_RSRC2:USER_SGPR: 2
; COMPUTE_PGM_RSRC2:TRAP_HANDLER: 0
; COMPUTE_PGM_RSRC2:TGID_X_EN: 1
; COMPUTE_PGM_RSRC2:TGID_Y_EN: 0
; COMPUTE_PGM_RSRC2:TGID_Z_EN: 0
; COMPUTE_PGM_RSRC2:TIDIG_COMP_CNT: 0
	.section	.text._ZN9rocsparseL12csrilu0_hashILj256ELj32ELj1E21rocsparse_complex_numIfEEEviPKiS4_PT2_S4_PiS4_S7_S7_d21rocsparse_index_base_imNS_24const_host_device_scalarIfEENS9_IdEENS9_IS5_EEb,"axG",@progbits,_ZN9rocsparseL12csrilu0_hashILj256ELj32ELj1E21rocsparse_complex_numIfEEEviPKiS4_PT2_S4_PiS4_S7_S7_d21rocsparse_index_base_imNS_24const_host_device_scalarIfEENS9_IdEENS9_IS5_EEb,comdat
	.globl	_ZN9rocsparseL12csrilu0_hashILj256ELj32ELj1E21rocsparse_complex_numIfEEEviPKiS4_PT2_S4_PiS4_S7_S7_d21rocsparse_index_base_imNS_24const_host_device_scalarIfEENS9_IdEENS9_IS5_EEb ; -- Begin function _ZN9rocsparseL12csrilu0_hashILj256ELj32ELj1E21rocsparse_complex_numIfEEEviPKiS4_PT2_S4_PiS4_S7_S7_d21rocsparse_index_base_imNS_24const_host_device_scalarIfEENS9_IdEENS9_IS5_EEb
	.p2align	8
	.type	_ZN9rocsparseL12csrilu0_hashILj256ELj32ELj1E21rocsparse_complex_numIfEEEviPKiS4_PT2_S4_PiS4_S7_S7_d21rocsparse_index_base_imNS_24const_host_device_scalarIfEENS9_IdEENS9_IS5_EEb,@function
_ZN9rocsparseL12csrilu0_hashILj256ELj32ELj1E21rocsparse_complex_numIfEEEviPKiS4_PT2_S4_PiS4_S7_S7_d21rocsparse_index_base_imNS_24const_host_device_scalarIfEENS9_IdEENS9_IS5_EEb: ; @_ZN9rocsparseL12csrilu0_hashILj256ELj32ELj1E21rocsparse_complex_numIfEEEviPKiS4_PT2_S4_PiS4_S7_S7_d21rocsparse_index_base_imNS_24const_host_device_scalarIfEENS9_IdEENS9_IS5_EEb
; %bb.0:
	s_clause 0x2
	s_load_b32 s2, s[0:1], 0x78
	s_load_b64 s[28:29], s[0:1], 0x50
	s_load_b256 s[20:27], s[0:1], 0x58
	s_wait_kmcnt 0x0
	s_bitcmp1_b32 s2, 0
	s_cselect_b32 s4, -1, 0
	s_cmp_eq_u32 s29, 0
	s_cselect_b32 s2, -1, 0
	s_cmp_lg_u32 s29, 0
	s_cselect_b32 s5, -1, 0
	s_or_b32 s7, s2, s4
	s_delay_alu instid0(SALU_CYCLE_1)
	s_xor_b32 s6, s7, -1
	s_and_b32 s2, s2, exec_lo
	s_cselect_b32 s3, 0, s25
	s_cselect_b32 s2, 0, s24
	;; [unrolled: 1-line block ×3, first 2 shown]
	s_and_b32 vcc_lo, exec_lo, s7
	s_cbranch_vccnz .LBB27_2
; %bb.1:
	s_load_b32 s29, s[22:23], 0x0
	s_mov_b64 s[2:3], s[24:25]
.LBB27_2:
	s_delay_alu instid0(SALU_CYCLE_1)
	v_mov_b64_e32 v[2:3], s[2:3]
	s_and_not1_b32 vcc_lo, exec_lo, s6
	s_cbranch_vccnz .LBB27_4
; %bb.3:
	v_mov_b32_e32 v1, 0
	flat_load_b64 v[2:3], v1, s[24:25]
.LBB27_4:
	v_cndmask_b32_e64 v15, 0, 1, s5
	s_mov_b32 s3, 0
	s_and_not1_b32 vcc_lo, exec_lo, s5
	s_wait_xcnt 0x0
	s_mov_b32 s22, 0
	s_cbranch_vccnz .LBB27_10
; %bb.5:
	s_xor_b32 s2, s4, -1
	s_mov_b32 s3, s26
	v_cndmask_b32_e64 v1, 0, 1, s2
	s_and_not1_b32 vcc_lo, exec_lo, s2
	s_cbranch_vccnz .LBB27_7
; %bb.6:
	s_load_b32 s3, s[26:27], 0x0
.LBB27_7:
	s_delay_alu instid0(VALU_DEP_1)
	v_cmp_ne_u32_e32 vcc_lo, 1, v1
	s_cbranch_vccnz .LBB27_9
; %bb.8:
	s_wait_xcnt 0x0
	s_load_b32 s27, s[26:27], 0x4
.LBB27_9:
	s_wait_kmcnt 0x0
	s_mov_b32 s22, s27
.LBB27_10:
	s_load_b32 s2, s[0:1], 0x0
	s_bfe_u32 s4, ttmp6, 0x4000c
	s_and_b32 s5, ttmp6, 15
	s_add_co_i32 s4, s4, 1
	s_getreg_b32 s6, hwreg(HW_REG_IB_STS2, 6, 4)
	s_mul_i32 s4, ttmp9, s4
	v_and_b32_e32 v14, 31, v0
	s_add_co_i32 s5, s5, s4
	s_cmp_eq_u32 s6, 0
	v_and_b32_e32 v9, 0xe0, v0
	v_lshrrev_b32_e32 v0, 5, v0
	s_cselect_b32 s4, ttmp9, s5
	v_mov_b32_e32 v4, -1
	s_lshl_b32 s4, s4, 3
	v_lshl_or_b32 v5, v9, 2, 0x400
	v_and_or_b32 v0, 0x7fffff8, s4, v0
	s_delay_alu instid0(VALU_DEP_2) | instskip(SKIP_1) | instid1(VALU_DEP_2)
	v_lshl_or_b32 v1, v14, 2, v5
	s_wait_kmcnt 0x0
	v_cmp_gt_i32_e32 vcc_lo, s2, v0
	ds_store_b32 v1, v4
	s_wait_loadcnt_dscnt 0x0
	s_and_saveexec_b32 s2, vcc_lo
	s_cbranch_execz .LBB27_88
; %bb.11:
	s_load_b512 s[4:19], s[0:1], 0x8
	v_lshlrev_b32_e32 v16, 2, v9
	s_mov_b32 s2, exec_lo
	s_wait_kmcnt 0x0
	global_load_b32 v0, v0, s[14:15] scale_offset
	s_wait_loadcnt 0x0
	v_ashrrev_i32_e32 v1, 31, v0
	s_delay_alu instid0(VALU_DEP_1)
	v_lshl_add_u64 v[6:7], v[0:1], 2, s[4:5]
	global_load_b64 v[10:11], v[6:7], off
	global_load_b32 v4, v0, s[10:11] scale_offset
	s_wait_loadcnt 0x1
	s_wait_xcnt 0x1
	v_subrev_nc_u32_e32 v6, s28, v10
	v_subrev_nc_u32_e32 v7, s28, v11
	s_delay_alu instid0(VALU_DEP_2) | instskip(SKIP_1) | instid1(VALU_DEP_1)
	v_add_nc_u32_e32 v8, v6, v14
	s_wait_xcnt 0x0
	v_cmpx_lt_i32_e64 v8, v7
	s_cbranch_execz .LBB27_34
; %bb.12:
	v_mov_b32_e32 v9, -1
	s_mov_b32 s14, 0
	s_branch .LBB27_14
.LBB27_13:                              ;   in Loop: Header=BB27_14 Depth=1
	s_or_b32 exec_lo, exec_lo, s15
	v_add_nc_u32_e32 v8, 32, v8
	s_delay_alu instid0(VALU_DEP_1) | instskip(SKIP_1) | instid1(SALU_CYCLE_1)
	v_cmp_ge_i32_e32 vcc_lo, v8, v7
	s_or_b32 s14, vcc_lo, s14
	s_and_not1_b32 exec_lo, exec_lo, s14
	s_cbranch_execz .LBB27_34
.LBB27_14:                              ; =>This Loop Header: Depth=1
                                        ;     Child Loop BB27_23 Depth 2
	global_load_b32 v10, v8, s[6:7] scale_offset
	v_mov_b32_e32 v11, 32
	s_mov_b32 s15, 0
                                        ; implicit-def: $sgpr23
                                        ; implicit-def: $sgpr24
                                        ; implicit-def: $sgpr25
	s_wait_loadcnt 0x0
	v_mul_lo_u32 v13, v10, 7
	s_branch .LBB27_23
.LBB27_15:                              ;   in Loop: Header=BB27_23 Depth=2
	s_or_b32 exec_lo, exec_lo, s38
	s_delay_alu instid0(SALU_CYCLE_1)
	s_or_not1_b32 s36, s36, exec_lo
	s_or_not1_b32 s37, s37, exec_lo
.LBB27_16:                              ;   in Loop: Header=BB27_23 Depth=2
	s_or_b32 exec_lo, exec_lo, s35
	s_delay_alu instid0(SALU_CYCLE_1)
	s_and_b32 s36, s36, exec_lo
	s_or_not1_b32 s35, s37, exec_lo
.LBB27_17:                              ;   in Loop: Header=BB27_23 Depth=2
	s_or_b32 exec_lo, exec_lo, s34
	s_delay_alu instid0(SALU_CYCLE_1)
	s_or_not1_b32 s34, s36, exec_lo
	s_or_not1_b32 s35, s35, exec_lo
.LBB27_18:                              ;   in Loop: Header=BB27_23 Depth=2
	s_or_b32 exec_lo, exec_lo, s33
	s_delay_alu instid0(SALU_CYCLE_1)
	s_and_b32 s34, s34, exec_lo
	s_or_not1_b32 s33, s35, exec_lo
.LBB27_19:                              ;   in Loop: Header=BB27_23 Depth=2
	s_or_b32 exec_lo, exec_lo, s31
	s_delay_alu instid0(SALU_CYCLE_1)
	s_or_not1_b32 s31, s34, exec_lo
	s_or_not1_b32 s33, s33, exec_lo
.LBB27_20:                              ;   in Loop: Header=BB27_23 Depth=2
	s_or_b32 exec_lo, exec_lo, s30
	s_delay_alu instid0(SALU_CYCLE_1)
	s_and_b32 s31, s31, exec_lo
	s_or_not1_b32 s30, s33, exec_lo
.LBB27_21:                              ;   in Loop: Header=BB27_23 Depth=2
	s_or_b32 exec_lo, exec_lo, s27
	s_delay_alu instid0(SALU_CYCLE_1)
	s_and_not1_b32 s25, s25, exec_lo
	s_and_b32 s27, s31, exec_lo
	s_and_not1_b32 s24, s24, exec_lo
	s_and_b32 s30, s30, exec_lo
	s_or_b32 s25, s25, s27
	s_or_b32 s24, s24, s30
.LBB27_22:                              ;   in Loop: Header=BB27_23 Depth=2
	s_or_b32 exec_lo, exec_lo, s26
	s_delay_alu instid0(SALU_CYCLE_1) | instskip(NEXT) | instid1(SALU_CYCLE_1)
	s_and_b32 s26, exec_lo, s24
	s_or_b32 s15, s26, s15
	s_and_not1_b32 s23, s23, exec_lo
	s_and_b32 s26, s25, exec_lo
	s_delay_alu instid0(SALU_CYCLE_1)
	s_or_b32 s23, s23, s26
	s_and_not1_b32 exec_lo, exec_lo, s15
	s_cbranch_execz .LBB27_32
.LBB27_23:                              ;   Parent Loop BB27_14 Depth=1
                                        ; =>  This Inner Loop Header: Depth=2
	s_delay_alu instid0(VALU_DEP_1) | instskip(SKIP_3) | instid1(VALU_DEP_1)
	v_and_b32_e32 v12, 31, v13
	s_or_b32 s25, s25, exec_lo
	s_or_b32 s24, s24, exec_lo
	s_mov_b32 s26, exec_lo
	v_lshl_add_u32 v17, v12, 2, v5
	ds_load_b32 v18, v17
	s_wait_dscnt 0x0
	s_wait_xcnt 0x0
	v_cmpx_ne_u32_e64 v18, v10
	s_cbranch_execz .LBB27_22
; %bb.24:                               ;   in Loop: Header=BB27_23 Depth=2
	ds_cmpstore_rtn_b32 v17, v17, v10, v9
	s_mov_b32 s30, -1
	s_mov_b32 s31, 0
	s_mov_b32 s27, exec_lo
	s_wait_dscnt 0x0
	v_cmpx_ne_u32_e32 -1, v17
	s_cbranch_execz .LBB27_21
; %bb.25:                               ;   in Loop: Header=BB27_23 Depth=2
	v_add_nc_u32_e32 v12, 1, v13
	s_mov_b32 s33, -1
	s_mov_b32 s31, -1
	s_mov_b32 s30, exec_lo
	s_delay_alu instid0(VALU_DEP_1) | instskip(NEXT) | instid1(VALU_DEP_1)
	v_and_b32_e32 v12, 31, v12
	v_lshl_add_u32 v17, v12, 2, v5
	ds_load_b32 v18, v17
	s_wait_dscnt 0x0
	v_cmpx_ne_u32_e64 v18, v10
	s_cbranch_execz .LBB27_20
; %bb.26:                               ;   in Loop: Header=BB27_23 Depth=2
	ds_cmpstore_rtn_b32 v17, v17, v10, v9
	s_mov_b32 s34, 0
	s_mov_b32 s31, exec_lo
	s_wait_dscnt 0x0
	v_cmpx_ne_u32_e32 -1, v17
	s_cbranch_execz .LBB27_19
; %bb.27:                               ;   in Loop: Header=BB27_23 Depth=2
	v_add_nc_u32_e32 v12, 2, v13
	s_mov_b32 s35, -1
	s_mov_b32 s34, -1
	s_mov_b32 s33, exec_lo
	s_delay_alu instid0(VALU_DEP_1) | instskip(NEXT) | instid1(VALU_DEP_1)
	v_and_b32_e32 v12, 31, v12
	v_lshl_add_u32 v17, v12, 2, v5
	ds_load_b32 v18, v17
	s_wait_dscnt 0x0
	v_cmpx_ne_u32_e64 v18, v10
	s_cbranch_execz .LBB27_18
; %bb.28:                               ;   in Loop: Header=BB27_23 Depth=2
	ds_cmpstore_rtn_b32 v17, v17, v10, v9
	s_mov_b32 s36, 0
	s_mov_b32 s34, exec_lo
	s_wait_dscnt 0x0
	v_cmpx_ne_u32_e32 -1, v17
	s_cbranch_execz .LBB27_17
; %bb.29:                               ;   in Loop: Header=BB27_23 Depth=2
	v_add_nc_u32_e32 v12, 3, v13
	s_mov_b32 s37, -1
	s_mov_b32 s36, -1
	s_delay_alu instid0(VALU_DEP_1) | instskip(NEXT) | instid1(VALU_DEP_1)
	v_and_b32_e32 v12, 31, v12
	v_lshl_add_u32 v17, v12, 2, v5
	ds_load_b32 v13, v17
	s_wait_dscnt 0x0
	v_cmp_ne_u32_e32 vcc_lo, v13, v10
                                        ; implicit-def: $vgpr13
	s_and_saveexec_b32 s35, vcc_lo
	s_cbranch_execz .LBB27_16
; %bb.30:                               ;   in Loop: Header=BB27_23 Depth=2
	ds_cmpstore_rtn_b32 v13, v17, v10, v9
	s_mov_b32 s36, 0
	s_wait_dscnt 0x0
	v_cmp_ne_u32_e32 vcc_lo, -1, v13
                                        ; implicit-def: $vgpr13
	s_and_saveexec_b32 s38, vcc_lo
	s_cbranch_execz .LBB27_15
; %bb.31:                               ;   in Loop: Header=BB27_23 Depth=2
	v_dual_add_nc_u32 v11, -4, v11 :: v_dual_add_nc_u32 v13, 1, v12
	s_mov_b32 s36, exec_lo
	s_delay_alu instid0(VALU_DEP_1)
	v_cmp_eq_u32_e32 vcc_lo, 0, v11
	s_or_not1_b32 s37, vcc_lo, exec_lo
	s_branch .LBB27_15
.LBB27_32:                              ;   in Loop: Header=BB27_14 Depth=1
	s_or_b32 exec_lo, exec_lo, s15
	s_xor_b32 s15, s23, -1
	s_delay_alu instid0(SALU_CYCLE_1) | instskip(NEXT) | instid1(SALU_CYCLE_1)
	s_and_saveexec_b32 s23, s15
	s_xor_b32 s15, exec_lo, s23
	s_cbranch_execz .LBB27_13
; %bb.33:                               ;   in Loop: Header=BB27_14 Depth=1
	v_lshl_add_u32 v10, v12, 2, v16
	ds_store_b32 v10, v8
	s_branch .LBB27_13
.LBB27_34:
	s_or_b32 exec_lo, exec_lo, s2
	s_delay_alu instid0(SALU_CYCLE_1)
	s_mov_b32 s14, exec_lo
	s_wait_loadcnt_dscnt 0x0
	v_cmpx_lt_i32_e64 v6, v4
	s_cbranch_execz .LBB27_64
; %bb.35:
	v_add_nc_u32_e32 v17, 1, v14
	s_mov_b32 s15, 0
	s_branch .LBB27_38
.LBB27_36:                              ;   in Loop: Header=BB27_38 Depth=1
	s_or_b32 exec_lo, exec_lo, s23
	v_add_nc_u32_e32 v6, 1, v6
	s_delay_alu instid0(VALU_DEP_1)
	v_cmp_ge_i32_e32 vcc_lo, v6, v4
	s_or_not1_b32 s23, vcc_lo, exec_lo
.LBB27_37:                              ;   in Loop: Header=BB27_38 Depth=1
	s_or_b32 exec_lo, exec_lo, s2
	s_delay_alu instid0(SALU_CYCLE_1) | instskip(NEXT) | instid1(SALU_CYCLE_1)
	s_and_b32 s2, exec_lo, s23
	s_or_b32 s15, s2, s15
	s_delay_alu instid0(SALU_CYCLE_1)
	s_and_not1_b32 exec_lo, exec_lo, s15
	s_cbranch_execz .LBB27_64
.LBB27_38:                              ; =>This Loop Header: Depth=1
                                        ;     Child Loop BB27_39 Depth 2
                                        ;     Child Loop BB27_44 Depth 2
                                        ;       Child Loop BB27_53 Depth 3
	s_clause 0x1
	global_load_b32 v7, v6, s[6:7] scale_offset
	global_load_b64 v[8:9], v6, s[8:9] scale_offset
	s_mov_b32 s2, 0
	s_wait_loadcnt 0x1
	v_subrev_nc_u32_e32 v10, s28, v7
	v_ashrrev_i32_e32 v7, 31, v6
	s_clause 0x1
	global_load_b32 v19, v10, s[4:5] offset:4 scale_offset
	global_load_b32 v18, v10, s[10:11] scale_offset
	v_ashrrev_i32_e32 v11, 31, v10
	v_lshl_add_u64 v[12:13], v[6:7], 3, s[8:9]
	s_wait_xcnt 0x0
	s_delay_alu instid0(VALU_DEP_2)
	v_lshl_add_u64 v[10:11], v[10:11], 2, s[12:13]
.LBB27_39:                              ;   Parent Loop BB27_38 Depth=1
                                        ; =>  This Inner Loop Header: Depth=2
	global_load_b32 v7, v[10:11], off scope:SCOPE_DEV
	s_wait_loadcnt 0x0
	v_cmp_ne_u32_e32 vcc_lo, 0, v7
	s_or_b32 s2, vcc_lo, s2
	s_wait_xcnt 0x0
	s_and_not1_b32 exec_lo, exec_lo, s2
	s_cbranch_execnz .LBB27_39
; %bb.40:                               ;   in Loop: Header=BB27_38 Depth=1
	s_or_b32 exec_lo, exec_lo, s2
	v_subrev_nc_u32_e32 v7, s28, v19
	v_cmp_eq_u32_e32 vcc_lo, -1, v18
	global_inv scope:SCOPE_DEV
	s_mov_b32 s23, -1
	v_add_nc_u32_e32 v10, -1, v7
	s_delay_alu instid0(VALU_DEP_1)
	v_cndmask_b32_e32 v18, v18, v10, vcc_lo
	global_load_b64 v[10:11], v18, s[8:9] scale_offset
	s_wait_loadcnt 0x0
	v_cmp_neq_f32_e32 vcc_lo, 0, v10
	v_cmp_neq_f32_e64 s2, 0, v11
	s_or_b32 s24, vcc_lo, s2
	s_wait_xcnt 0x0
	s_and_saveexec_b32 s2, s24
	s_cbranch_execz .LBB27_37
; %bb.41:                               ;   in Loop: Header=BB27_38 Depth=1
	v_mul_f32_e32 v19, v11, v11
	s_mov_b32 s23, exec_lo
	s_delay_alu instid0(VALU_DEP_1) | instskip(NEXT) | instid1(VALU_DEP_1)
	v_fmac_f32_e32 v19, v10, v10
	v_div_scale_f32 v20, null, v19, v19, 1.0
	v_div_scale_f32 v23, vcc_lo, 1.0, v19, 1.0
	s_delay_alu instid0(VALU_DEP_2) | instskip(SKIP_1) | instid1(TRANS32_DEP_1)
	v_rcp_f32_e32 v21, v20
	v_nop
	v_fma_f32 v22, -v20, v21, 1.0
	s_delay_alu instid0(VALU_DEP_1) | instskip(NEXT) | instid1(VALU_DEP_1)
	v_fmac_f32_e32 v21, v22, v21
	v_mul_f32_e32 v22, v23, v21
	s_delay_alu instid0(VALU_DEP_1) | instskip(NEXT) | instid1(VALU_DEP_1)
	v_fma_f32 v24, -v20, v22, v23
	v_fmac_f32_e32 v22, v24, v21
	s_delay_alu instid0(VALU_DEP_1) | instskip(NEXT) | instid1(VALU_DEP_1)
	v_dual_fma_f32 v23, -v20, v22, v23 :: v_dual_mov_b32 v20, v11
	v_div_fmas_f32 v11, v23, v21, v22
	s_delay_alu instid0(VALU_DEP_2) | instskip(NEXT) | instid1(VALU_DEP_2)
	v_pk_mul_f32 v[20:21], v[8:9], v[20:21] op_sel:[1,0] op_sel_hi:[0,0] neg_hi:[1,0]
	v_div_fixup_f32 v22, v11, v19, 1.0
	s_delay_alu instid0(VALU_DEP_2) | instskip(SKIP_1) | instid1(VALU_DEP_2)
	v_pk_fma_f32 v[10:11], v[8:9], v[10:11], v[20:21] op_sel_hi:[1,0,1]
	v_add_nc_u32_e32 v8, v17, v18
	v_pk_mul_f32 v[10:11], v[10:11], v[22:23] op_sel_hi:[1,0]
	global_store_b64 v[12:13], v[10:11], off
	s_wait_xcnt 0x0
	v_cmpx_lt_i32_e64 v8, v7
	s_cbranch_execz .LBB27_36
; %bb.42:                               ;   in Loop: Header=BB27_38 Depth=1
	v_xor_b32_e32 v13, 0x80000000, v10
	v_mov_b32_e32 v12, v11
	s_mov_b32 s24, 0
	s_branch .LBB27_44
.LBB27_43:                              ;   in Loop: Header=BB27_44 Depth=2
	s_wait_xcnt 0x0
	s_or_b32 exec_lo, exec_lo, s25
	v_add_nc_u32_e32 v8, 32, v8
	s_delay_alu instid0(VALU_DEP_1) | instskip(SKIP_1) | instid1(SALU_CYCLE_1)
	v_cmp_ge_i32_e32 vcc_lo, v8, v7
	s_or_b32 s24, vcc_lo, s24
	s_and_not1_b32 exec_lo, exec_lo, s24
	s_cbranch_execz .LBB27_36
.LBB27_44:                              ;   Parent Loop BB27_38 Depth=1
                                        ; =>  This Loop Header: Depth=2
                                        ;       Child Loop BB27_53 Depth 3
	global_load_b32 v18, v8, s[6:7] scale_offset
	v_dual_ashrrev_i32 v9, 31, v8 :: v_dual_mov_b32 v19, 32
	s_mov_b32 s25, 0
                                        ; implicit-def: $sgpr26
                                        ; implicit-def: $sgpr27
                                        ; implicit-def: $sgpr30
	s_wait_loadcnt 0x0
	v_mul_lo_u32 v21, v18, 7
	s_branch .LBB27_53
.LBB27_45:                              ;   in Loop: Header=BB27_53 Depth=3
	s_or_b32 exec_lo, exec_lo, s41
	s_delay_alu instid0(SALU_CYCLE_1)
	s_or_not1_b32 s39, s39, exec_lo
	s_or_not1_b32 s40, s40, exec_lo
.LBB27_46:                              ;   in Loop: Header=BB27_53 Depth=3
	s_or_b32 exec_lo, exec_lo, s38
	s_delay_alu instid0(SALU_CYCLE_1)
	s_and_b32 s39, s39, exec_lo
	s_or_not1_b32 s38, s40, exec_lo
.LBB27_47:                              ;   in Loop: Header=BB27_53 Depth=3
	s_or_b32 exec_lo, exec_lo, s37
	s_delay_alu instid0(SALU_CYCLE_1)
	s_or_not1_b32 s37, s39, exec_lo
	s_or_not1_b32 s38, s38, exec_lo
.LBB27_48:                              ;   in Loop: Header=BB27_53 Depth=3
	s_or_b32 exec_lo, exec_lo, s36
	s_delay_alu instid0(SALU_CYCLE_1)
	s_and_b32 s37, s37, exec_lo
	s_or_not1_b32 s36, s38, exec_lo
.LBB27_49:                              ;   in Loop: Header=BB27_53 Depth=3
	s_or_b32 exec_lo, exec_lo, s35
	s_delay_alu instid0(SALU_CYCLE_1)
	s_or_not1_b32 s35, s37, exec_lo
	s_or_not1_b32 s36, s36, exec_lo
.LBB27_50:                              ;   in Loop: Header=BB27_53 Depth=3
	s_or_b32 exec_lo, exec_lo, s34
	s_delay_alu instid0(SALU_CYCLE_1)
	s_and_b32 s35, s35, exec_lo
	s_or_not1_b32 s34, s36, exec_lo
.LBB27_51:                              ;   in Loop: Header=BB27_53 Depth=3
	s_or_b32 exec_lo, exec_lo, s33
	s_delay_alu instid0(SALU_CYCLE_1)
	s_and_not1_b32 s30, s30, exec_lo
	s_and_b32 s33, s35, exec_lo
	s_and_not1_b32 s27, s27, exec_lo
	s_and_b32 s34, s34, exec_lo
	s_or_b32 s30, s30, s33
	s_or_b32 s27, s27, s34
.LBB27_52:                              ;   in Loop: Header=BB27_53 Depth=3
	s_or_b32 exec_lo, exec_lo, s31
	s_delay_alu instid0(SALU_CYCLE_1) | instskip(NEXT) | instid1(SALU_CYCLE_1)
	s_and_b32 s31, exec_lo, s27
	s_or_b32 s25, s31, s25
	s_and_not1_b32 s26, s26, exec_lo
	s_and_b32 s31, s30, exec_lo
	s_delay_alu instid0(SALU_CYCLE_1)
	s_or_b32 s26, s26, s31
	s_and_not1_b32 exec_lo, exec_lo, s25
	s_cbranch_execz .LBB27_62
.LBB27_53:                              ;   Parent Loop BB27_38 Depth=1
                                        ;     Parent Loop BB27_44 Depth=2
                                        ; =>    This Inner Loop Header: Depth=3
	s_delay_alu instid0(VALU_DEP_1) | instskip(SKIP_3) | instid1(VALU_DEP_1)
	v_and_b32_e32 v20, 31, v21
	s_or_b32 s30, s30, exec_lo
	s_or_b32 s27, s27, exec_lo
	s_mov_b32 s31, exec_lo
	v_lshl_add_u32 v22, v20, 2, v5
	ds_load_b32 v22, v22
	s_wait_dscnt 0x0
	s_wait_xcnt 0x0
	v_cmpx_ne_u32_e32 -1, v22
	s_cbranch_execz .LBB27_52
; %bb.54:                               ;   in Loop: Header=BB27_53 Depth=3
	s_mov_b32 s34, -1
	s_mov_b32 s35, 0
	s_mov_b32 s33, exec_lo
	v_cmpx_ne_u32_e64 v22, v18
	s_cbranch_execz .LBB27_51
; %bb.55:                               ;   in Loop: Header=BB27_53 Depth=3
	v_add_nc_u32_e32 v20, 1, v21
	s_mov_b32 s36, -1
	s_mov_b32 s35, -1
	s_mov_b32 s34, exec_lo
	s_delay_alu instid0(VALU_DEP_1) | instskip(NEXT) | instid1(VALU_DEP_1)
	v_and_b32_e32 v20, 31, v20
	v_lshl_add_u32 v22, v20, 2, v5
	ds_load_b32 v22, v22
	s_wait_dscnt 0x0
	v_cmpx_ne_u32_e32 -1, v22
	s_cbranch_execz .LBB27_50
; %bb.56:                               ;   in Loop: Header=BB27_53 Depth=3
	s_mov_b32 s37, 0
	s_mov_b32 s35, exec_lo
	v_cmpx_ne_u32_e64 v22, v18
	s_cbranch_execz .LBB27_49
; %bb.57:                               ;   in Loop: Header=BB27_53 Depth=3
	v_add_nc_u32_e32 v20, 2, v21
	s_mov_b32 s38, -1
	s_mov_b32 s37, -1
	s_mov_b32 s36, exec_lo
	s_delay_alu instid0(VALU_DEP_1) | instskip(NEXT) | instid1(VALU_DEP_1)
	v_and_b32_e32 v20, 31, v20
	v_lshl_add_u32 v22, v20, 2, v5
	ds_load_b32 v22, v22
	s_wait_dscnt 0x0
	v_cmpx_ne_u32_e32 -1, v22
	s_cbranch_execz .LBB27_48
; %bb.58:                               ;   in Loop: Header=BB27_53 Depth=3
	s_mov_b32 s39, 0
	s_mov_b32 s37, exec_lo
	v_cmpx_ne_u32_e64 v22, v18
	s_cbranch_execz .LBB27_47
; %bb.59:                               ;   in Loop: Header=BB27_53 Depth=3
	v_add_nc_u32_e32 v20, 3, v21
	s_mov_b32 s40, -1
	s_mov_b32 s39, -1
	s_mov_b32 s38, exec_lo
	s_delay_alu instid0(VALU_DEP_1) | instskip(NEXT) | instid1(VALU_DEP_1)
	v_and_b32_e32 v20, 31, v20
	v_lshl_add_u32 v21, v20, 2, v5
	ds_load_b32 v22, v21
                                        ; implicit-def: $vgpr21
	s_wait_dscnt 0x0
	v_cmpx_ne_u32_e32 -1, v22
	s_cbranch_execz .LBB27_46
; %bb.60:                               ;   in Loop: Header=BB27_53 Depth=3
	s_mov_b32 s39, 0
	s_mov_b32 s41, exec_lo
                                        ; implicit-def: $vgpr21
	v_cmpx_ne_u32_e64 v22, v18
	s_cbranch_execz .LBB27_45
; %bb.61:                               ;   in Loop: Header=BB27_53 Depth=3
	v_dual_add_nc_u32 v19, -4, v19 :: v_dual_add_nc_u32 v21, 1, v20
	s_mov_b32 s39, exec_lo
	s_delay_alu instid0(VALU_DEP_1)
	v_cmp_eq_u32_e32 vcc_lo, 0, v19
	s_or_not1_b32 s40, vcc_lo, exec_lo
	s_branch .LBB27_45
.LBB27_62:                              ;   in Loop: Header=BB27_44 Depth=2
	s_or_b32 exec_lo, exec_lo, s25
	s_xor_b32 s25, s26, -1
	s_delay_alu instid0(SALU_CYCLE_1) | instskip(NEXT) | instid1(SALU_CYCLE_1)
	s_and_saveexec_b32 s26, s25
	s_xor_b32 s25, exec_lo, s26
	s_cbranch_execz .LBB27_43
; %bb.63:                               ;   in Loop: Header=BB27_44 Depth=2
	v_lshl_add_u32 v18, v20, 2, v16
	ds_load_b32 v24, v18
	v_lshl_add_u64 v[18:19], v[8:9], 3, s[8:9]
	global_load_b64 v[20:21], v[18:19], off
	s_wait_dscnt 0x0
	global_load_b64 v[22:23], v24, s[8:9] scale_offset
	s_wait_loadcnt 0x0
	s_wait_xcnt 0x1
	v_pk_fma_f32 v[18:19], v[10:11], v[20:21], v[22:23] op_sel_hi:[1,0,1] neg_lo:[1,0,0] neg_hi:[1,0,0]
	s_delay_alu instid0(VALU_DEP_1)
	v_pk_fma_f32 v[18:19], v[12:13], v[20:21], v[18:19] op_sel:[0,1,0]
	global_store_b64 v24, v[18:19], s[8:9] scale_offset
	s_branch .LBB27_43
.LBB27_64:
	s_or_b32 exec_lo, exec_lo, s14
	s_delay_alu instid0(SALU_CYCLE_1)
	s_mov_b32 s4, exec_lo
	s_wait_storecnt 0x0
	v_cmpx_lt_i32_e32 -1, v4
	s_cbranch_execz .LBB27_86
; %bb.65:
	global_load_b64 v[6:7], v4, s[8:9] scale_offset
	v_mov_b32_e32 v5, 0
                                        ; implicit-def: $vgpr10
	s_mov_b32 s2, exec_lo
	s_wait_loadcnt 0x0
	v_cmp_gt_f32_e32 vcc_lo, 0, v6
	v_cndmask_b32_e64 v8, v6, -v6, vcc_lo
	v_cmp_gt_f32_e32 vcc_lo, 0, v7
	v_cndmask_b32_e64 v9, v7, -v7, vcc_lo
	s_delay_alu instid0(VALU_DEP_1)
	v_cmpx_ngt_f32_e32 v8, v9
	s_xor_b32 s5, exec_lo, s2
	s_cbranch_execz .LBB27_69
; %bb.66:
	v_mov_b32_e32 v10, 0
	s_mov_b32 s6, exec_lo
	v_cmpx_neq_f32_e32 0, v7
	s_cbranch_execz .LBB27_68
; %bb.67:
	v_div_scale_f32 v10, null, v9, v9, v8
	v_div_scale_f32 v13, vcc_lo, v8, v9, v8
	s_delay_alu instid0(VALU_DEP_2) | instskip(SKIP_1) | instid1(TRANS32_DEP_1)
	v_rcp_f32_e32 v11, v10
	v_nop
	v_fma_f32 v12, -v10, v11, 1.0
	s_delay_alu instid0(VALU_DEP_1) | instskip(NEXT) | instid1(VALU_DEP_1)
	v_fmac_f32_e32 v11, v12, v11
	v_mul_f32_e32 v12, v13, v11
	s_delay_alu instid0(VALU_DEP_1) | instskip(NEXT) | instid1(VALU_DEP_1)
	v_fma_f32 v16, -v10, v12, v13
	v_fmac_f32_e32 v12, v16, v11
	s_delay_alu instid0(VALU_DEP_1) | instskip(NEXT) | instid1(VALU_DEP_1)
	v_fma_f32 v10, -v10, v12, v13
	v_div_fmas_f32 v10, v10, v11, v12
	s_delay_alu instid0(VALU_DEP_1) | instskip(NEXT) | instid1(VALU_DEP_1)
	v_div_fixup_f32 v8, v10, v9, v8
	v_fma_f32 v8, v8, v8, 1.0
	s_delay_alu instid0(VALU_DEP_1) | instskip(SKIP_1) | instid1(VALU_DEP_2)
	v_mul_f32_e32 v10, 0x4f800000, v8
	v_cmp_gt_f32_e32 vcc_lo, 0xf800000, v8
	v_cndmask_b32_e32 v8, v8, v10, vcc_lo
	s_delay_alu instid0(VALU_DEP_1) | instskip(SKIP_1) | instid1(TRANS32_DEP_1)
	v_sqrt_f32_e32 v10, v8
	v_nop
	v_dual_add_nc_u32 v11, -1, v10 :: v_dual_add_nc_u32 v12, 1, v10
	s_delay_alu instid0(VALU_DEP_1) | instskip(NEXT) | instid1(VALU_DEP_1)
	v_fma_f32 v13, -v11, v10, v8
	v_cmp_ge_f32_e64 s2, 0, v13
	s_delay_alu instid0(VALU_DEP_1) | instskip(NEXT) | instid1(VALU_DEP_1)
	v_dual_fma_f32 v16, -v12, v10, v8 :: v_dual_cndmask_b32 v10, v10, v11, s2
	v_cmp_lt_f32_e64 s2, 0, v16
	s_delay_alu instid0(VALU_DEP_1) | instskip(NEXT) | instid1(VALU_DEP_1)
	v_cndmask_b32_e64 v10, v10, v12, s2
	v_mul_f32_e32 v11, 0x37800000, v10
	s_delay_alu instid0(VALU_DEP_1) | instskip(SKIP_1) | instid1(VALU_DEP_2)
	v_cndmask_b32_e32 v10, v10, v11, vcc_lo
	v_cmp_class_f32_e64 vcc_lo, v8, 0x260
	v_cndmask_b32_e32 v8, v10, v8, vcc_lo
	s_delay_alu instid0(VALU_DEP_1)
	v_mul_f32_e32 v10, v9, v8
.LBB27_68:
	s_or_b32 exec_lo, exec_lo, s6
                                        ; implicit-def: $vgpr8
                                        ; implicit-def: $vgpr9
.LBB27_69:
	s_and_not1_saveexec_b32 s5, s5
	s_cbranch_execz .LBB27_71
; %bb.70:
	v_div_scale_f32 v10, null, v8, v8, v9
	v_div_scale_f32 v13, vcc_lo, v9, v8, v9
	s_delay_alu instid0(VALU_DEP_2) | instskip(SKIP_1) | instid1(TRANS32_DEP_1)
	v_rcp_f32_e32 v11, v10
	v_nop
	v_fma_f32 v12, -v10, v11, 1.0
	s_delay_alu instid0(VALU_DEP_1) | instskip(NEXT) | instid1(VALU_DEP_1)
	v_fmac_f32_e32 v11, v12, v11
	v_mul_f32_e32 v12, v13, v11
	s_delay_alu instid0(VALU_DEP_1) | instskip(NEXT) | instid1(VALU_DEP_1)
	v_fma_f32 v16, -v10, v12, v13
	v_fmac_f32_e32 v12, v16, v11
	s_delay_alu instid0(VALU_DEP_1) | instskip(NEXT) | instid1(VALU_DEP_1)
	v_fma_f32 v10, -v10, v12, v13
	v_div_fmas_f32 v10, v10, v11, v12
	s_delay_alu instid0(VALU_DEP_1) | instskip(NEXT) | instid1(VALU_DEP_1)
	v_div_fixup_f32 v9, v10, v8, v9
	v_fma_f32 v9, v9, v9, 1.0
	s_delay_alu instid0(VALU_DEP_1) | instskip(SKIP_1) | instid1(VALU_DEP_2)
	v_mul_f32_e32 v10, 0x4f800000, v9
	v_cmp_gt_f32_e32 vcc_lo, 0xf800000, v9
	v_cndmask_b32_e32 v9, v9, v10, vcc_lo
	s_delay_alu instid0(VALU_DEP_1) | instskip(SKIP_1) | instid1(TRANS32_DEP_1)
	v_sqrt_f32_e32 v10, v9
	v_nop
	v_dual_add_nc_u32 v11, -1, v10 :: v_dual_add_nc_u32 v12, 1, v10
	s_delay_alu instid0(VALU_DEP_1) | instskip(NEXT) | instid1(VALU_DEP_1)
	v_fma_f32 v13, -v11, v10, v9
	v_cmp_ge_f32_e64 s2, 0, v13
	s_delay_alu instid0(VALU_DEP_1) | instskip(NEXT) | instid1(VALU_DEP_1)
	v_dual_fma_f32 v16, -v12, v10, v9 :: v_dual_cndmask_b32 v10, v10, v11, s2
	v_cmp_lt_f32_e64 s2, 0, v16
	s_delay_alu instid0(VALU_DEP_1) | instskip(NEXT) | instid1(VALU_DEP_1)
	v_cndmask_b32_e64 v10, v10, v12, s2
	v_mul_f32_e32 v11, 0x37800000, v10
	s_delay_alu instid0(VALU_DEP_1) | instskip(SKIP_1) | instid1(VALU_DEP_2)
	v_cndmask_b32_e32 v10, v10, v11, vcc_lo
	v_cmp_class_f32_e64 vcc_lo, v9, 0x260
	v_cndmask_b32_e32 v9, v10, v9, vcc_lo
	s_delay_alu instid0(VALU_DEP_1)
	v_mul_f32_e32 v10, v8, v9
.LBB27_71:
	s_or_b32 exec_lo, exec_lo, s5
	s_delay_alu instid0(VALU_DEP_1)
	v_cvt_f64_f32_e32 v[8:9], v10
	v_cmp_ne_u32_e32 vcc_lo, 1, v15
	v_cmp_eq_u32_e64 s2, 0, v14
	s_mov_b32 s5, -1
	s_cbranch_vccnz .LBB27_75
; %bb.72:
	v_cvt_f64_f32_e32 v[10:11], s29
	s_cmp_eq_u64 s[20:21], 8
	s_cselect_b32 vcc_lo, -1, 0
	s_delay_alu instid0(VALU_DEP_1) | instskip(NEXT) | instid1(VALU_DEP_1)
	v_dual_cndmask_b32 v3, v11, v3 :: v_dual_cndmask_b32 v2, v10, v2
	v_cmp_ge_f64_e32 vcc_lo, v[2:3], v[8:9]
	s_and_b32 s6, s2, vcc_lo
	s_delay_alu instid0(SALU_CYCLE_1)
	s_and_saveexec_b32 s5, s6
	s_cbranch_execz .LBB27_74
; %bb.73:
	v_lshl_add_u64 v[2:3], v[4:5], 3, s[8:9]
	v_dual_mov_b32 v4, s3 :: v_dual_mov_b32 v5, s22
	global_store_b64 v[2:3], v[4:5], off
	global_wb scope:SCOPE_DEV
	s_wait_storecnt 0x0
	global_inv scope:SCOPE_DEV
.LBB27_74:
	s_wait_xcnt 0x0
	s_or_b32 exec_lo, exec_lo, s5
	s_mov_b32 s5, 0
.LBB27_75:
	s_delay_alu instid0(SALU_CYCLE_1)
	s_and_not1_b32 vcc_lo, exec_lo, s5
	s_cbranch_vccnz .LBB27_86
; %bb.76:
	s_load_b64 s[0:1], s[0:1], 0x48
	v_add_nc_u32_e32 v2, s28, v0
	s_wait_kmcnt 0x0
	v_cmp_ge_f64_e32 vcc_lo, s[0:1], v[8:9]
	s_and_b32 s1, s2, vcc_lo
	s_delay_alu instid0(SALU_CYCLE_1)
	s_and_saveexec_b32 s0, s1
	s_cbranch_execz .LBB27_81
; %bb.77:
	s_mov_b32 s3, exec_lo
	s_brev_b32 s1, -2
.LBB27_78:                              ; =>This Inner Loop Header: Depth=1
	s_ctz_i32_b32 s5, s3
	s_delay_alu instid0(SALU_CYCLE_1) | instskip(SKIP_1) | instid1(SALU_CYCLE_1)
	v_readlane_b32 s6, v2, s5
	s_lshl_b32 s5, 1, s5
	s_and_not1_b32 s3, s3, s5
	s_min_i32 s1, s1, s6
	s_cmp_lg_u32 s3, 0
	s_cbranch_scc1 .LBB27_78
; %bb.79:
	v_mbcnt_lo_u32_b32 v3, exec_lo, 0
	s_mov_b32 s3, exec_lo
	s_delay_alu instid0(VALU_DEP_1)
	v_cmpx_eq_u32_e32 0, v3
	s_xor_b32 s3, exec_lo, s3
	s_cbranch_execz .LBB27_81
; %bb.80:
	v_dual_mov_b32 v3, 0 :: v_dual_mov_b32 v4, s1
	global_atomic_min_i32 v3, v4, s[18:19] scope:SCOPE_DEV
.LBB27_81:
	s_wait_xcnt 0x0
	s_or_b32 exec_lo, exec_lo, s0
	v_cmp_eq_f32_e32 vcc_lo, 0, v6
	v_cmp_eq_f32_e64 s0, 0, v7
	s_and_b32 s0, vcc_lo, s0
	s_delay_alu instid0(SALU_CYCLE_1) | instskip(NEXT) | instid1(SALU_CYCLE_1)
	s_and_b32 s0, s2, s0
	s_and_b32 exec_lo, exec_lo, s0
	s_cbranch_execz .LBB27_86
; %bb.82:
	s_mov_b32 s1, exec_lo
	s_brev_b32 s0, -2
.LBB27_83:                              ; =>This Inner Loop Header: Depth=1
	s_ctz_i32_b32 s2, s1
	s_delay_alu instid0(SALU_CYCLE_1) | instskip(SKIP_1) | instid1(SALU_CYCLE_1)
	v_readlane_b32 s3, v2, s2
	s_lshl_b32 s2, 1, s2
	s_and_not1_b32 s1, s1, s2
	s_min_i32 s0, s0, s3
	s_cmp_lg_u32 s1, 0
	s_cbranch_scc1 .LBB27_83
; %bb.84:
	v_mbcnt_lo_u32_b32 v2, exec_lo, 0
	s_mov_b32 s1, exec_lo
	s_delay_alu instid0(VALU_DEP_1)
	v_cmpx_eq_u32_e32 0, v2
	s_xor_b32 s1, exec_lo, s1
	s_cbranch_execz .LBB27_86
; %bb.85:
	v_dual_mov_b32 v2, 0 :: v_dual_mov_b32 v3, s0
	global_atomic_min_i32 v2, v3, s[16:17] scope:SCOPE_DEV
.LBB27_86:
	s_wait_xcnt 0x0
	s_or_b32 exec_lo, exec_lo, s4
	v_cmp_eq_u32_e32 vcc_lo, 0, v14
	global_wb scope:SCOPE_DEV
	s_wait_loadcnt 0x0
	s_wait_storecnt 0x0
	global_inv scope:SCOPE_DEV
	s_and_b32 exec_lo, exec_lo, vcc_lo
	s_cbranch_execz .LBB27_88
; %bb.87:
	v_lshl_add_u64 v[0:1], v[0:1], 2, s[12:13]
	v_mov_b32_e32 v2, 1
	global_wb scope:SCOPE_DEV
	s_wait_loadcnt 0x0
	s_wait_storecnt 0x0
	global_store_b32 v[0:1], v2, off scope:SCOPE_DEV
.LBB27_88:
	s_endpgm
	.section	.rodata,"a",@progbits
	.p2align	6, 0x0
	.amdhsa_kernel _ZN9rocsparseL12csrilu0_hashILj256ELj32ELj1E21rocsparse_complex_numIfEEEviPKiS4_PT2_S4_PiS4_S7_S7_d21rocsparse_index_base_imNS_24const_host_device_scalarIfEENS9_IdEENS9_IS5_EEb
		.amdhsa_group_segment_fixed_size 2048
		.amdhsa_private_segment_fixed_size 0
		.amdhsa_kernarg_size 124
		.amdhsa_user_sgpr_count 2
		.amdhsa_user_sgpr_dispatch_ptr 0
		.amdhsa_user_sgpr_queue_ptr 0
		.amdhsa_user_sgpr_kernarg_segment_ptr 1
		.amdhsa_user_sgpr_dispatch_id 0
		.amdhsa_user_sgpr_kernarg_preload_length 0
		.amdhsa_user_sgpr_kernarg_preload_offset 0
		.amdhsa_user_sgpr_private_segment_size 0
		.amdhsa_wavefront_size32 1
		.amdhsa_uses_dynamic_stack 0
		.amdhsa_enable_private_segment 0
		.amdhsa_system_sgpr_workgroup_id_x 1
		.amdhsa_system_sgpr_workgroup_id_y 0
		.amdhsa_system_sgpr_workgroup_id_z 0
		.amdhsa_system_sgpr_workgroup_info 0
		.amdhsa_system_vgpr_workitem_id 0
		.amdhsa_next_free_vgpr 25
		.amdhsa_next_free_sgpr 42
		.amdhsa_named_barrier_count 0
		.amdhsa_reserve_vcc 1
		.amdhsa_float_round_mode_32 0
		.amdhsa_float_round_mode_16_64 0
		.amdhsa_float_denorm_mode_32 3
		.amdhsa_float_denorm_mode_16_64 3
		.amdhsa_fp16_overflow 0
		.amdhsa_memory_ordered 1
		.amdhsa_forward_progress 1
		.amdhsa_inst_pref_size 27
		.amdhsa_round_robin_scheduling 0
		.amdhsa_exception_fp_ieee_invalid_op 0
		.amdhsa_exception_fp_denorm_src 0
		.amdhsa_exception_fp_ieee_div_zero 0
		.amdhsa_exception_fp_ieee_overflow 0
		.amdhsa_exception_fp_ieee_underflow 0
		.amdhsa_exception_fp_ieee_inexact 0
		.amdhsa_exception_int_div_zero 0
	.end_amdhsa_kernel
	.section	.text._ZN9rocsparseL12csrilu0_hashILj256ELj32ELj1E21rocsparse_complex_numIfEEEviPKiS4_PT2_S4_PiS4_S7_S7_d21rocsparse_index_base_imNS_24const_host_device_scalarIfEENS9_IdEENS9_IS5_EEb,"axG",@progbits,_ZN9rocsparseL12csrilu0_hashILj256ELj32ELj1E21rocsparse_complex_numIfEEEviPKiS4_PT2_S4_PiS4_S7_S7_d21rocsparse_index_base_imNS_24const_host_device_scalarIfEENS9_IdEENS9_IS5_EEb,comdat
.Lfunc_end27:
	.size	_ZN9rocsparseL12csrilu0_hashILj256ELj32ELj1E21rocsparse_complex_numIfEEEviPKiS4_PT2_S4_PiS4_S7_S7_d21rocsparse_index_base_imNS_24const_host_device_scalarIfEENS9_IdEENS9_IS5_EEb, .Lfunc_end27-_ZN9rocsparseL12csrilu0_hashILj256ELj32ELj1E21rocsparse_complex_numIfEEEviPKiS4_PT2_S4_PiS4_S7_S7_d21rocsparse_index_base_imNS_24const_host_device_scalarIfEENS9_IdEENS9_IS5_EEb
                                        ; -- End function
	.set _ZN9rocsparseL12csrilu0_hashILj256ELj32ELj1E21rocsparse_complex_numIfEEEviPKiS4_PT2_S4_PiS4_S7_S7_d21rocsparse_index_base_imNS_24const_host_device_scalarIfEENS9_IdEENS9_IS5_EEb.num_vgpr, 25
	.set _ZN9rocsparseL12csrilu0_hashILj256ELj32ELj1E21rocsparse_complex_numIfEEEviPKiS4_PT2_S4_PiS4_S7_S7_d21rocsparse_index_base_imNS_24const_host_device_scalarIfEENS9_IdEENS9_IS5_EEb.num_agpr, 0
	.set _ZN9rocsparseL12csrilu0_hashILj256ELj32ELj1E21rocsparse_complex_numIfEEEviPKiS4_PT2_S4_PiS4_S7_S7_d21rocsparse_index_base_imNS_24const_host_device_scalarIfEENS9_IdEENS9_IS5_EEb.numbered_sgpr, 42
	.set _ZN9rocsparseL12csrilu0_hashILj256ELj32ELj1E21rocsparse_complex_numIfEEEviPKiS4_PT2_S4_PiS4_S7_S7_d21rocsparse_index_base_imNS_24const_host_device_scalarIfEENS9_IdEENS9_IS5_EEb.num_named_barrier, 0
	.set _ZN9rocsparseL12csrilu0_hashILj256ELj32ELj1E21rocsparse_complex_numIfEEEviPKiS4_PT2_S4_PiS4_S7_S7_d21rocsparse_index_base_imNS_24const_host_device_scalarIfEENS9_IdEENS9_IS5_EEb.private_seg_size, 0
	.set _ZN9rocsparseL12csrilu0_hashILj256ELj32ELj1E21rocsparse_complex_numIfEEEviPKiS4_PT2_S4_PiS4_S7_S7_d21rocsparse_index_base_imNS_24const_host_device_scalarIfEENS9_IdEENS9_IS5_EEb.uses_vcc, 1
	.set _ZN9rocsparseL12csrilu0_hashILj256ELj32ELj1E21rocsparse_complex_numIfEEEviPKiS4_PT2_S4_PiS4_S7_S7_d21rocsparse_index_base_imNS_24const_host_device_scalarIfEENS9_IdEENS9_IS5_EEb.uses_flat_scratch, 0
	.set _ZN9rocsparseL12csrilu0_hashILj256ELj32ELj1E21rocsparse_complex_numIfEEEviPKiS4_PT2_S4_PiS4_S7_S7_d21rocsparse_index_base_imNS_24const_host_device_scalarIfEENS9_IdEENS9_IS5_EEb.has_dyn_sized_stack, 0
	.set _ZN9rocsparseL12csrilu0_hashILj256ELj32ELj1E21rocsparse_complex_numIfEEEviPKiS4_PT2_S4_PiS4_S7_S7_d21rocsparse_index_base_imNS_24const_host_device_scalarIfEENS9_IdEENS9_IS5_EEb.has_recursion, 0
	.set _ZN9rocsparseL12csrilu0_hashILj256ELj32ELj1E21rocsparse_complex_numIfEEEviPKiS4_PT2_S4_PiS4_S7_S7_d21rocsparse_index_base_imNS_24const_host_device_scalarIfEENS9_IdEENS9_IS5_EEb.has_indirect_call, 0
	.section	.AMDGPU.csdata,"",@progbits
; Kernel info:
; codeLenInByte = 3452
; TotalNumSgprs: 44
; NumVgprs: 25
; ScratchSize: 0
; MemoryBound: 0
; FloatMode: 240
; IeeeMode: 1
; LDSByteSize: 2048 bytes/workgroup (compile time only)
; SGPRBlocks: 0
; VGPRBlocks: 1
; NumSGPRsForWavesPerEU: 44
; NumVGPRsForWavesPerEU: 25
; NamedBarCnt: 0
; Occupancy: 16
; WaveLimiterHint : 1
; COMPUTE_PGM_RSRC2:SCRATCH_EN: 0
; COMPUTE_PGM_RSRC2:USER_SGPR: 2
; COMPUTE_PGM_RSRC2:TRAP_HANDLER: 0
; COMPUTE_PGM_RSRC2:TGID_X_EN: 1
; COMPUTE_PGM_RSRC2:TGID_Y_EN: 0
; COMPUTE_PGM_RSRC2:TGID_Z_EN: 0
; COMPUTE_PGM_RSRC2:TIDIG_COMP_CNT: 0
	.section	.text._ZN9rocsparseL12csrilu0_hashILj256ELj32ELj2E21rocsparse_complex_numIfEEEviPKiS4_PT2_S4_PiS4_S7_S7_d21rocsparse_index_base_imNS_24const_host_device_scalarIfEENS9_IdEENS9_IS5_EEb,"axG",@progbits,_ZN9rocsparseL12csrilu0_hashILj256ELj32ELj2E21rocsparse_complex_numIfEEEviPKiS4_PT2_S4_PiS4_S7_S7_d21rocsparse_index_base_imNS_24const_host_device_scalarIfEENS9_IdEENS9_IS5_EEb,comdat
	.globl	_ZN9rocsparseL12csrilu0_hashILj256ELj32ELj2E21rocsparse_complex_numIfEEEviPKiS4_PT2_S4_PiS4_S7_S7_d21rocsparse_index_base_imNS_24const_host_device_scalarIfEENS9_IdEENS9_IS5_EEb ; -- Begin function _ZN9rocsparseL12csrilu0_hashILj256ELj32ELj2E21rocsparse_complex_numIfEEEviPKiS4_PT2_S4_PiS4_S7_S7_d21rocsparse_index_base_imNS_24const_host_device_scalarIfEENS9_IdEENS9_IS5_EEb
	.p2align	8
	.type	_ZN9rocsparseL12csrilu0_hashILj256ELj32ELj2E21rocsparse_complex_numIfEEEviPKiS4_PT2_S4_PiS4_S7_S7_d21rocsparse_index_base_imNS_24const_host_device_scalarIfEENS9_IdEENS9_IS5_EEb,@function
_ZN9rocsparseL12csrilu0_hashILj256ELj32ELj2E21rocsparse_complex_numIfEEEviPKiS4_PT2_S4_PiS4_S7_S7_d21rocsparse_index_base_imNS_24const_host_device_scalarIfEENS9_IdEENS9_IS5_EEb: ; @_ZN9rocsparseL12csrilu0_hashILj256ELj32ELj2E21rocsparse_complex_numIfEEEviPKiS4_PT2_S4_PiS4_S7_S7_d21rocsparse_index_base_imNS_24const_host_device_scalarIfEENS9_IdEENS9_IS5_EEb
; %bb.0:
	s_clause 0x2
	s_load_b32 s2, s[0:1], 0x78
	s_load_b64 s[28:29], s[0:1], 0x50
	s_load_b256 s[20:27], s[0:1], 0x58
	s_wait_kmcnt 0x0
	s_bitcmp1_b32 s2, 0
	s_cselect_b32 s4, -1, 0
	s_cmp_eq_u32 s29, 0
	s_cselect_b32 s2, -1, 0
	s_cmp_lg_u32 s29, 0
	s_cselect_b32 s5, -1, 0
	s_or_b32 s7, s2, s4
	s_delay_alu instid0(SALU_CYCLE_1)
	s_xor_b32 s6, s7, -1
	s_and_b32 s2, s2, exec_lo
	s_cselect_b32 s3, 0, s25
	s_cselect_b32 s2, 0, s24
	;; [unrolled: 1-line block ×3, first 2 shown]
	s_and_b32 vcc_lo, exec_lo, s7
	s_cbranch_vccnz .LBB28_2
; %bb.1:
	s_load_b32 s29, s[22:23], 0x0
	s_mov_b64 s[2:3], s[24:25]
.LBB28_2:
	s_delay_alu instid0(SALU_CYCLE_1)
	v_mov_b64_e32 v[2:3], s[2:3]
	s_and_not1_b32 vcc_lo, exec_lo, s6
	s_cbranch_vccnz .LBB28_4
; %bb.3:
	v_mov_b32_e32 v1, 0
	flat_load_b64 v[2:3], v1, s[24:25]
.LBB28_4:
	v_cndmask_b32_e64 v15, 0, 1, s5
	s_mov_b32 s3, 0
	s_and_not1_b32 vcc_lo, exec_lo, s5
	s_wait_xcnt 0x0
	s_mov_b32 s22, 0
	s_cbranch_vccnz .LBB28_10
; %bb.5:
	s_xor_b32 s2, s4, -1
	s_mov_b32 s3, s26
	v_cndmask_b32_e64 v1, 0, 1, s2
	s_and_not1_b32 vcc_lo, exec_lo, s2
	s_cbranch_vccnz .LBB28_7
; %bb.6:
	s_load_b32 s3, s[26:27], 0x0
.LBB28_7:
	s_delay_alu instid0(VALU_DEP_1)
	v_cmp_ne_u32_e32 vcc_lo, 1, v1
	s_cbranch_vccnz .LBB28_9
; %bb.8:
	s_wait_xcnt 0x0
	s_load_b32 s27, s[26:27], 0x4
.LBB28_9:
	s_wait_kmcnt 0x0
	s_mov_b32 s22, s27
.LBB28_10:
	s_load_b32 s2, s[0:1], 0x0
	s_bfe_u32 s4, ttmp6, 0x4000c
	v_dual_lshlrev_b32 v1, 1, v0 :: v_dual_bitop2_b32 v14, 31, v0 bitop3:0x40
	s_add_co_i32 s4, s4, 1
	s_and_b32 s5, ttmp6, 15
	s_mul_i32 s4, ttmp9, s4
	s_getreg_b32 s6, hwreg(HW_REG_IB_STS2, 6, 4)
	s_add_co_i32 s5, s5, s4
	s_cmp_eq_u32 s6, 0
	v_and_b32_e32 v9, 0x1c0, v1
	v_dual_lshrrev_b32 v0, 5, v0 :: v_dual_mov_b32 v4, -1
	s_cselect_b32 s4, ttmp9, s5
	s_delay_alu instid0(SALU_CYCLE_1) | instskip(NEXT) | instid1(VALU_DEP_2)
	s_lshl_b32 s4, s4, 3
	v_lshl_or_b32 v5, v9, 2, 0x800
	s_delay_alu instid0(VALU_DEP_2) | instskip(NEXT) | instid1(VALU_DEP_2)
	v_and_or_b32 v0, 0x7fffff8, s4, v0
	v_lshl_or_b32 v1, v14, 2, v5
	s_wait_kmcnt 0x0
	s_delay_alu instid0(VALU_DEP_2)
	v_cmp_gt_i32_e32 vcc_lo, s2, v0
	ds_store_2addr_b32 v1, v4, v4 offset1:32
	s_wait_loadcnt_dscnt 0x0
	s_and_saveexec_b32 s2, vcc_lo
	s_cbranch_execz .LBB28_88
; %bb.11:
	s_load_b512 s[4:19], s[0:1], 0x8
	v_lshlrev_b32_e32 v16, 2, v9
	s_mov_b32 s2, exec_lo
	s_wait_kmcnt 0x0
	global_load_b32 v0, v0, s[14:15] scale_offset
	s_wait_loadcnt 0x0
	v_ashrrev_i32_e32 v1, 31, v0
	s_delay_alu instid0(VALU_DEP_1)
	v_lshl_add_u64 v[6:7], v[0:1], 2, s[4:5]
	global_load_b64 v[10:11], v[6:7], off
	global_load_b32 v4, v0, s[10:11] scale_offset
	s_wait_loadcnt 0x1
	s_wait_xcnt 0x1
	v_subrev_nc_u32_e32 v6, s28, v10
	v_subrev_nc_u32_e32 v7, s28, v11
	s_delay_alu instid0(VALU_DEP_2) | instskip(SKIP_1) | instid1(VALU_DEP_1)
	v_add_nc_u32_e32 v8, v6, v14
	s_wait_xcnt 0x0
	v_cmpx_lt_i32_e64 v8, v7
	s_cbranch_execz .LBB28_34
; %bb.12:
	v_mov_b32_e32 v9, -1
	s_mov_b32 s14, 0
	s_branch .LBB28_14
.LBB28_13:                              ;   in Loop: Header=BB28_14 Depth=1
	s_or_b32 exec_lo, exec_lo, s15
	v_add_nc_u32_e32 v8, 32, v8
	s_delay_alu instid0(VALU_DEP_1) | instskip(SKIP_1) | instid1(SALU_CYCLE_1)
	v_cmp_ge_i32_e32 vcc_lo, v8, v7
	s_or_b32 s14, vcc_lo, s14
	s_and_not1_b32 exec_lo, exec_lo, s14
	s_cbranch_execz .LBB28_34
.LBB28_14:                              ; =>This Loop Header: Depth=1
                                        ;     Child Loop BB28_23 Depth 2
	global_load_b32 v10, v8, s[6:7] scale_offset
	v_mov_b32_e32 v11, 64
	s_mov_b32 s15, 0
                                        ; implicit-def: $sgpr23
                                        ; implicit-def: $sgpr24
                                        ; implicit-def: $sgpr25
	s_wait_loadcnt 0x0
	v_mul_lo_u32 v13, v10, 39
	s_branch .LBB28_23
.LBB28_15:                              ;   in Loop: Header=BB28_23 Depth=2
	s_or_b32 exec_lo, exec_lo, s38
	s_delay_alu instid0(SALU_CYCLE_1)
	s_or_not1_b32 s36, s36, exec_lo
	s_or_not1_b32 s37, s37, exec_lo
.LBB28_16:                              ;   in Loop: Header=BB28_23 Depth=2
	s_or_b32 exec_lo, exec_lo, s35
	s_delay_alu instid0(SALU_CYCLE_1)
	s_and_b32 s36, s36, exec_lo
	s_or_not1_b32 s35, s37, exec_lo
.LBB28_17:                              ;   in Loop: Header=BB28_23 Depth=2
	s_or_b32 exec_lo, exec_lo, s34
	s_delay_alu instid0(SALU_CYCLE_1)
	s_or_not1_b32 s34, s36, exec_lo
	s_or_not1_b32 s35, s35, exec_lo
.LBB28_18:                              ;   in Loop: Header=BB28_23 Depth=2
	s_or_b32 exec_lo, exec_lo, s33
	s_delay_alu instid0(SALU_CYCLE_1)
	s_and_b32 s34, s34, exec_lo
	s_or_not1_b32 s33, s35, exec_lo
.LBB28_19:                              ;   in Loop: Header=BB28_23 Depth=2
	s_or_b32 exec_lo, exec_lo, s31
	s_delay_alu instid0(SALU_CYCLE_1)
	s_or_not1_b32 s31, s34, exec_lo
	s_or_not1_b32 s33, s33, exec_lo
.LBB28_20:                              ;   in Loop: Header=BB28_23 Depth=2
	s_or_b32 exec_lo, exec_lo, s30
	s_delay_alu instid0(SALU_CYCLE_1)
	s_and_b32 s31, s31, exec_lo
	s_or_not1_b32 s30, s33, exec_lo
.LBB28_21:                              ;   in Loop: Header=BB28_23 Depth=2
	s_or_b32 exec_lo, exec_lo, s27
	s_delay_alu instid0(SALU_CYCLE_1)
	s_and_not1_b32 s25, s25, exec_lo
	s_and_b32 s27, s31, exec_lo
	s_and_not1_b32 s24, s24, exec_lo
	s_and_b32 s30, s30, exec_lo
	s_or_b32 s25, s25, s27
	s_or_b32 s24, s24, s30
.LBB28_22:                              ;   in Loop: Header=BB28_23 Depth=2
	s_or_b32 exec_lo, exec_lo, s26
	s_delay_alu instid0(SALU_CYCLE_1) | instskip(NEXT) | instid1(SALU_CYCLE_1)
	s_and_b32 s26, exec_lo, s24
	s_or_b32 s15, s26, s15
	s_and_not1_b32 s23, s23, exec_lo
	s_and_b32 s26, s25, exec_lo
	s_delay_alu instid0(SALU_CYCLE_1)
	s_or_b32 s23, s23, s26
	s_and_not1_b32 exec_lo, exec_lo, s15
	s_cbranch_execz .LBB28_32
.LBB28_23:                              ;   Parent Loop BB28_14 Depth=1
                                        ; =>  This Inner Loop Header: Depth=2
	s_delay_alu instid0(VALU_DEP_1) | instskip(SKIP_3) | instid1(VALU_DEP_1)
	v_and_b32_e32 v12, 63, v13
	s_or_b32 s25, s25, exec_lo
	s_or_b32 s24, s24, exec_lo
	s_mov_b32 s26, exec_lo
	v_lshl_add_u32 v17, v12, 2, v5
	ds_load_b32 v18, v17
	s_wait_dscnt 0x0
	s_wait_xcnt 0x0
	v_cmpx_ne_u32_e64 v18, v10
	s_cbranch_execz .LBB28_22
; %bb.24:                               ;   in Loop: Header=BB28_23 Depth=2
	ds_cmpstore_rtn_b32 v17, v17, v10, v9
	s_mov_b32 s30, -1
	s_mov_b32 s31, 0
	s_mov_b32 s27, exec_lo
	s_wait_dscnt 0x0
	v_cmpx_ne_u32_e32 -1, v17
	s_cbranch_execz .LBB28_21
; %bb.25:                               ;   in Loop: Header=BB28_23 Depth=2
	v_add_nc_u32_e32 v12, 1, v13
	s_mov_b32 s33, -1
	s_mov_b32 s31, -1
	s_mov_b32 s30, exec_lo
	s_delay_alu instid0(VALU_DEP_1) | instskip(NEXT) | instid1(VALU_DEP_1)
	v_and_b32_e32 v12, 63, v12
	v_lshl_add_u32 v17, v12, 2, v5
	ds_load_b32 v18, v17
	s_wait_dscnt 0x0
	v_cmpx_ne_u32_e64 v18, v10
	s_cbranch_execz .LBB28_20
; %bb.26:                               ;   in Loop: Header=BB28_23 Depth=2
	ds_cmpstore_rtn_b32 v17, v17, v10, v9
	s_mov_b32 s34, 0
	s_mov_b32 s31, exec_lo
	s_wait_dscnt 0x0
	v_cmpx_ne_u32_e32 -1, v17
	s_cbranch_execz .LBB28_19
; %bb.27:                               ;   in Loop: Header=BB28_23 Depth=2
	v_add_nc_u32_e32 v12, 2, v13
	s_mov_b32 s35, -1
	s_mov_b32 s34, -1
	s_mov_b32 s33, exec_lo
	s_delay_alu instid0(VALU_DEP_1) | instskip(NEXT) | instid1(VALU_DEP_1)
	v_and_b32_e32 v12, 63, v12
	v_lshl_add_u32 v17, v12, 2, v5
	ds_load_b32 v18, v17
	s_wait_dscnt 0x0
	v_cmpx_ne_u32_e64 v18, v10
	s_cbranch_execz .LBB28_18
; %bb.28:                               ;   in Loop: Header=BB28_23 Depth=2
	ds_cmpstore_rtn_b32 v17, v17, v10, v9
	s_mov_b32 s36, 0
	s_mov_b32 s34, exec_lo
	s_wait_dscnt 0x0
	v_cmpx_ne_u32_e32 -1, v17
	s_cbranch_execz .LBB28_17
; %bb.29:                               ;   in Loop: Header=BB28_23 Depth=2
	v_add_nc_u32_e32 v12, 3, v13
	s_mov_b32 s37, -1
	s_mov_b32 s36, -1
	s_delay_alu instid0(VALU_DEP_1) | instskip(NEXT) | instid1(VALU_DEP_1)
	v_and_b32_e32 v12, 63, v12
	v_lshl_add_u32 v17, v12, 2, v5
	ds_load_b32 v13, v17
	s_wait_dscnt 0x0
	v_cmp_ne_u32_e32 vcc_lo, v13, v10
                                        ; implicit-def: $vgpr13
	s_and_saveexec_b32 s35, vcc_lo
	s_cbranch_execz .LBB28_16
; %bb.30:                               ;   in Loop: Header=BB28_23 Depth=2
	ds_cmpstore_rtn_b32 v13, v17, v10, v9
	s_mov_b32 s36, 0
	s_wait_dscnt 0x0
	v_cmp_ne_u32_e32 vcc_lo, -1, v13
                                        ; implicit-def: $vgpr13
	s_and_saveexec_b32 s38, vcc_lo
	s_cbranch_execz .LBB28_15
; %bb.31:                               ;   in Loop: Header=BB28_23 Depth=2
	v_dual_add_nc_u32 v11, -4, v11 :: v_dual_add_nc_u32 v13, 1, v12
	s_mov_b32 s36, exec_lo
	s_delay_alu instid0(VALU_DEP_1)
	v_cmp_eq_u32_e32 vcc_lo, 0, v11
	s_or_not1_b32 s37, vcc_lo, exec_lo
	s_branch .LBB28_15
.LBB28_32:                              ;   in Loop: Header=BB28_14 Depth=1
	s_or_b32 exec_lo, exec_lo, s15
	s_xor_b32 s15, s23, -1
	s_delay_alu instid0(SALU_CYCLE_1) | instskip(NEXT) | instid1(SALU_CYCLE_1)
	s_and_saveexec_b32 s23, s15
	s_xor_b32 s15, exec_lo, s23
	s_cbranch_execz .LBB28_13
; %bb.33:                               ;   in Loop: Header=BB28_14 Depth=1
	v_lshl_add_u32 v10, v12, 2, v16
	ds_store_b32 v10, v8
	s_branch .LBB28_13
.LBB28_34:
	s_or_b32 exec_lo, exec_lo, s2
	s_delay_alu instid0(SALU_CYCLE_1)
	s_mov_b32 s14, exec_lo
	s_wait_loadcnt_dscnt 0x0
	v_cmpx_lt_i32_e64 v6, v4
	s_cbranch_execz .LBB28_64
; %bb.35:
	v_add_nc_u32_e32 v17, 1, v14
	s_mov_b32 s15, 0
	s_branch .LBB28_38
.LBB28_36:                              ;   in Loop: Header=BB28_38 Depth=1
	s_or_b32 exec_lo, exec_lo, s23
	v_add_nc_u32_e32 v6, 1, v6
	s_delay_alu instid0(VALU_DEP_1)
	v_cmp_ge_i32_e32 vcc_lo, v6, v4
	s_or_not1_b32 s23, vcc_lo, exec_lo
.LBB28_37:                              ;   in Loop: Header=BB28_38 Depth=1
	s_or_b32 exec_lo, exec_lo, s2
	s_delay_alu instid0(SALU_CYCLE_1) | instskip(NEXT) | instid1(SALU_CYCLE_1)
	s_and_b32 s2, exec_lo, s23
	s_or_b32 s15, s2, s15
	s_delay_alu instid0(SALU_CYCLE_1)
	s_and_not1_b32 exec_lo, exec_lo, s15
	s_cbranch_execz .LBB28_64
.LBB28_38:                              ; =>This Loop Header: Depth=1
                                        ;     Child Loop BB28_39 Depth 2
                                        ;     Child Loop BB28_44 Depth 2
                                        ;       Child Loop BB28_53 Depth 3
	s_clause 0x1
	global_load_b32 v7, v6, s[6:7] scale_offset
	global_load_b64 v[8:9], v6, s[8:9] scale_offset
	s_mov_b32 s2, 0
	s_wait_loadcnt 0x1
	v_subrev_nc_u32_e32 v10, s28, v7
	v_ashrrev_i32_e32 v7, 31, v6
	s_clause 0x1
	global_load_b32 v19, v10, s[4:5] offset:4 scale_offset
	global_load_b32 v18, v10, s[10:11] scale_offset
	v_ashrrev_i32_e32 v11, 31, v10
	v_lshl_add_u64 v[12:13], v[6:7], 3, s[8:9]
	s_wait_xcnt 0x0
	s_delay_alu instid0(VALU_DEP_2)
	v_lshl_add_u64 v[10:11], v[10:11], 2, s[12:13]
.LBB28_39:                              ;   Parent Loop BB28_38 Depth=1
                                        ; =>  This Inner Loop Header: Depth=2
	global_load_b32 v7, v[10:11], off scope:SCOPE_DEV
	s_wait_loadcnt 0x0
	v_cmp_ne_u32_e32 vcc_lo, 0, v7
	s_or_b32 s2, vcc_lo, s2
	s_wait_xcnt 0x0
	s_and_not1_b32 exec_lo, exec_lo, s2
	s_cbranch_execnz .LBB28_39
; %bb.40:                               ;   in Loop: Header=BB28_38 Depth=1
	s_or_b32 exec_lo, exec_lo, s2
	v_subrev_nc_u32_e32 v7, s28, v19
	v_cmp_eq_u32_e32 vcc_lo, -1, v18
	global_inv scope:SCOPE_DEV
	s_mov_b32 s23, -1
	v_add_nc_u32_e32 v10, -1, v7
	s_delay_alu instid0(VALU_DEP_1)
	v_cndmask_b32_e32 v18, v18, v10, vcc_lo
	global_load_b64 v[10:11], v18, s[8:9] scale_offset
	s_wait_loadcnt 0x0
	v_cmp_neq_f32_e32 vcc_lo, 0, v10
	v_cmp_neq_f32_e64 s2, 0, v11
	s_or_b32 s24, vcc_lo, s2
	s_wait_xcnt 0x0
	s_and_saveexec_b32 s2, s24
	s_cbranch_execz .LBB28_37
; %bb.41:                               ;   in Loop: Header=BB28_38 Depth=1
	v_mul_f32_e32 v19, v11, v11
	s_mov_b32 s23, exec_lo
	s_delay_alu instid0(VALU_DEP_1) | instskip(NEXT) | instid1(VALU_DEP_1)
	v_fmac_f32_e32 v19, v10, v10
	v_div_scale_f32 v20, null, v19, v19, 1.0
	v_div_scale_f32 v23, vcc_lo, 1.0, v19, 1.0
	s_delay_alu instid0(VALU_DEP_2) | instskip(SKIP_1) | instid1(TRANS32_DEP_1)
	v_rcp_f32_e32 v21, v20
	v_nop
	v_fma_f32 v22, -v20, v21, 1.0
	s_delay_alu instid0(VALU_DEP_1) | instskip(NEXT) | instid1(VALU_DEP_1)
	v_fmac_f32_e32 v21, v22, v21
	v_mul_f32_e32 v22, v23, v21
	s_delay_alu instid0(VALU_DEP_1) | instskip(NEXT) | instid1(VALU_DEP_1)
	v_fma_f32 v24, -v20, v22, v23
	v_fmac_f32_e32 v22, v24, v21
	s_delay_alu instid0(VALU_DEP_1) | instskip(NEXT) | instid1(VALU_DEP_1)
	v_dual_fma_f32 v23, -v20, v22, v23 :: v_dual_mov_b32 v20, v11
	v_div_fmas_f32 v11, v23, v21, v22
	s_delay_alu instid0(VALU_DEP_2) | instskip(NEXT) | instid1(VALU_DEP_2)
	v_pk_mul_f32 v[20:21], v[8:9], v[20:21] op_sel:[1,0] op_sel_hi:[0,0] neg_hi:[1,0]
	v_div_fixup_f32 v22, v11, v19, 1.0
	s_delay_alu instid0(VALU_DEP_2) | instskip(SKIP_1) | instid1(VALU_DEP_2)
	v_pk_fma_f32 v[10:11], v[8:9], v[10:11], v[20:21] op_sel_hi:[1,0,1]
	v_add_nc_u32_e32 v8, v17, v18
	v_pk_mul_f32 v[10:11], v[10:11], v[22:23] op_sel_hi:[1,0]
	global_store_b64 v[12:13], v[10:11], off
	s_wait_xcnt 0x0
	v_cmpx_lt_i32_e64 v8, v7
	s_cbranch_execz .LBB28_36
; %bb.42:                               ;   in Loop: Header=BB28_38 Depth=1
	v_xor_b32_e32 v13, 0x80000000, v10
	v_mov_b32_e32 v12, v11
	s_mov_b32 s24, 0
	s_branch .LBB28_44
.LBB28_43:                              ;   in Loop: Header=BB28_44 Depth=2
	s_wait_xcnt 0x0
	s_or_b32 exec_lo, exec_lo, s25
	v_add_nc_u32_e32 v8, 32, v8
	s_delay_alu instid0(VALU_DEP_1) | instskip(SKIP_1) | instid1(SALU_CYCLE_1)
	v_cmp_ge_i32_e32 vcc_lo, v8, v7
	s_or_b32 s24, vcc_lo, s24
	s_and_not1_b32 exec_lo, exec_lo, s24
	s_cbranch_execz .LBB28_36
.LBB28_44:                              ;   Parent Loop BB28_38 Depth=1
                                        ; =>  This Loop Header: Depth=2
                                        ;       Child Loop BB28_53 Depth 3
	global_load_b32 v18, v8, s[6:7] scale_offset
	v_dual_ashrrev_i32 v9, 31, v8 :: v_dual_mov_b32 v19, 64
	s_mov_b32 s25, 0
                                        ; implicit-def: $sgpr26
                                        ; implicit-def: $sgpr27
                                        ; implicit-def: $sgpr30
	s_wait_loadcnt 0x0
	v_mul_lo_u32 v21, v18, 39
	s_branch .LBB28_53
.LBB28_45:                              ;   in Loop: Header=BB28_53 Depth=3
	s_or_b32 exec_lo, exec_lo, s41
	s_delay_alu instid0(SALU_CYCLE_1)
	s_or_not1_b32 s39, s39, exec_lo
	s_or_not1_b32 s40, s40, exec_lo
.LBB28_46:                              ;   in Loop: Header=BB28_53 Depth=3
	s_or_b32 exec_lo, exec_lo, s38
	s_delay_alu instid0(SALU_CYCLE_1)
	s_and_b32 s39, s39, exec_lo
	s_or_not1_b32 s38, s40, exec_lo
.LBB28_47:                              ;   in Loop: Header=BB28_53 Depth=3
	s_or_b32 exec_lo, exec_lo, s37
	s_delay_alu instid0(SALU_CYCLE_1)
	s_or_not1_b32 s37, s39, exec_lo
	s_or_not1_b32 s38, s38, exec_lo
.LBB28_48:                              ;   in Loop: Header=BB28_53 Depth=3
	s_or_b32 exec_lo, exec_lo, s36
	s_delay_alu instid0(SALU_CYCLE_1)
	s_and_b32 s37, s37, exec_lo
	s_or_not1_b32 s36, s38, exec_lo
.LBB28_49:                              ;   in Loop: Header=BB28_53 Depth=3
	s_or_b32 exec_lo, exec_lo, s35
	s_delay_alu instid0(SALU_CYCLE_1)
	s_or_not1_b32 s35, s37, exec_lo
	s_or_not1_b32 s36, s36, exec_lo
.LBB28_50:                              ;   in Loop: Header=BB28_53 Depth=3
	s_or_b32 exec_lo, exec_lo, s34
	s_delay_alu instid0(SALU_CYCLE_1)
	s_and_b32 s35, s35, exec_lo
	s_or_not1_b32 s34, s36, exec_lo
.LBB28_51:                              ;   in Loop: Header=BB28_53 Depth=3
	s_or_b32 exec_lo, exec_lo, s33
	s_delay_alu instid0(SALU_CYCLE_1)
	s_and_not1_b32 s30, s30, exec_lo
	s_and_b32 s33, s35, exec_lo
	s_and_not1_b32 s27, s27, exec_lo
	s_and_b32 s34, s34, exec_lo
	s_or_b32 s30, s30, s33
	s_or_b32 s27, s27, s34
.LBB28_52:                              ;   in Loop: Header=BB28_53 Depth=3
	s_or_b32 exec_lo, exec_lo, s31
	s_delay_alu instid0(SALU_CYCLE_1) | instskip(NEXT) | instid1(SALU_CYCLE_1)
	s_and_b32 s31, exec_lo, s27
	s_or_b32 s25, s31, s25
	s_and_not1_b32 s26, s26, exec_lo
	s_and_b32 s31, s30, exec_lo
	s_delay_alu instid0(SALU_CYCLE_1)
	s_or_b32 s26, s26, s31
	s_and_not1_b32 exec_lo, exec_lo, s25
	s_cbranch_execz .LBB28_62
.LBB28_53:                              ;   Parent Loop BB28_38 Depth=1
                                        ;     Parent Loop BB28_44 Depth=2
                                        ; =>    This Inner Loop Header: Depth=3
	s_delay_alu instid0(VALU_DEP_1) | instskip(SKIP_3) | instid1(VALU_DEP_1)
	v_and_b32_e32 v20, 63, v21
	s_or_b32 s30, s30, exec_lo
	s_or_b32 s27, s27, exec_lo
	s_mov_b32 s31, exec_lo
	v_lshl_add_u32 v22, v20, 2, v5
	ds_load_b32 v22, v22
	s_wait_dscnt 0x0
	s_wait_xcnt 0x0
	v_cmpx_ne_u32_e32 -1, v22
	s_cbranch_execz .LBB28_52
; %bb.54:                               ;   in Loop: Header=BB28_53 Depth=3
	s_mov_b32 s34, -1
	s_mov_b32 s35, 0
	s_mov_b32 s33, exec_lo
	v_cmpx_ne_u32_e64 v22, v18
	s_cbranch_execz .LBB28_51
; %bb.55:                               ;   in Loop: Header=BB28_53 Depth=3
	v_add_nc_u32_e32 v20, 1, v21
	s_mov_b32 s36, -1
	s_mov_b32 s35, -1
	s_mov_b32 s34, exec_lo
	s_delay_alu instid0(VALU_DEP_1) | instskip(NEXT) | instid1(VALU_DEP_1)
	v_and_b32_e32 v20, 63, v20
	v_lshl_add_u32 v22, v20, 2, v5
	ds_load_b32 v22, v22
	s_wait_dscnt 0x0
	v_cmpx_ne_u32_e32 -1, v22
	s_cbranch_execz .LBB28_50
; %bb.56:                               ;   in Loop: Header=BB28_53 Depth=3
	s_mov_b32 s37, 0
	s_mov_b32 s35, exec_lo
	v_cmpx_ne_u32_e64 v22, v18
	s_cbranch_execz .LBB28_49
; %bb.57:                               ;   in Loop: Header=BB28_53 Depth=3
	v_add_nc_u32_e32 v20, 2, v21
	s_mov_b32 s38, -1
	s_mov_b32 s37, -1
	s_mov_b32 s36, exec_lo
	s_delay_alu instid0(VALU_DEP_1) | instskip(NEXT) | instid1(VALU_DEP_1)
	v_and_b32_e32 v20, 63, v20
	v_lshl_add_u32 v22, v20, 2, v5
	ds_load_b32 v22, v22
	s_wait_dscnt 0x0
	v_cmpx_ne_u32_e32 -1, v22
	s_cbranch_execz .LBB28_48
; %bb.58:                               ;   in Loop: Header=BB28_53 Depth=3
	s_mov_b32 s39, 0
	s_mov_b32 s37, exec_lo
	v_cmpx_ne_u32_e64 v22, v18
	s_cbranch_execz .LBB28_47
; %bb.59:                               ;   in Loop: Header=BB28_53 Depth=3
	v_add_nc_u32_e32 v20, 3, v21
	s_mov_b32 s40, -1
	s_mov_b32 s39, -1
	s_mov_b32 s38, exec_lo
	s_delay_alu instid0(VALU_DEP_1) | instskip(NEXT) | instid1(VALU_DEP_1)
	v_and_b32_e32 v20, 63, v20
	v_lshl_add_u32 v21, v20, 2, v5
	ds_load_b32 v22, v21
                                        ; implicit-def: $vgpr21
	s_wait_dscnt 0x0
	v_cmpx_ne_u32_e32 -1, v22
	s_cbranch_execz .LBB28_46
; %bb.60:                               ;   in Loop: Header=BB28_53 Depth=3
	s_mov_b32 s39, 0
	s_mov_b32 s41, exec_lo
                                        ; implicit-def: $vgpr21
	v_cmpx_ne_u32_e64 v22, v18
	s_cbranch_execz .LBB28_45
; %bb.61:                               ;   in Loop: Header=BB28_53 Depth=3
	v_dual_add_nc_u32 v19, -4, v19 :: v_dual_add_nc_u32 v21, 1, v20
	s_mov_b32 s39, exec_lo
	s_delay_alu instid0(VALU_DEP_1)
	v_cmp_eq_u32_e32 vcc_lo, 0, v19
	s_or_not1_b32 s40, vcc_lo, exec_lo
	s_branch .LBB28_45
.LBB28_62:                              ;   in Loop: Header=BB28_44 Depth=2
	s_or_b32 exec_lo, exec_lo, s25
	s_xor_b32 s25, s26, -1
	s_delay_alu instid0(SALU_CYCLE_1) | instskip(NEXT) | instid1(SALU_CYCLE_1)
	s_and_saveexec_b32 s26, s25
	s_xor_b32 s25, exec_lo, s26
	s_cbranch_execz .LBB28_43
; %bb.63:                               ;   in Loop: Header=BB28_44 Depth=2
	v_lshl_add_u32 v18, v20, 2, v16
	ds_load_b32 v24, v18
	v_lshl_add_u64 v[18:19], v[8:9], 3, s[8:9]
	global_load_b64 v[20:21], v[18:19], off
	s_wait_dscnt 0x0
	global_load_b64 v[22:23], v24, s[8:9] scale_offset
	s_wait_loadcnt 0x0
	s_wait_xcnt 0x1
	v_pk_fma_f32 v[18:19], v[10:11], v[20:21], v[22:23] op_sel_hi:[1,0,1] neg_lo:[1,0,0] neg_hi:[1,0,0]
	s_delay_alu instid0(VALU_DEP_1)
	v_pk_fma_f32 v[18:19], v[12:13], v[20:21], v[18:19] op_sel:[0,1,0]
	global_store_b64 v24, v[18:19], s[8:9] scale_offset
	s_branch .LBB28_43
.LBB28_64:
	s_or_b32 exec_lo, exec_lo, s14
	s_delay_alu instid0(SALU_CYCLE_1)
	s_mov_b32 s4, exec_lo
	s_wait_storecnt 0x0
	v_cmpx_lt_i32_e32 -1, v4
	s_cbranch_execz .LBB28_86
; %bb.65:
	global_load_b64 v[6:7], v4, s[8:9] scale_offset
	v_mov_b32_e32 v5, 0
                                        ; implicit-def: $vgpr10
	s_mov_b32 s2, exec_lo
	s_wait_loadcnt 0x0
	v_cmp_gt_f32_e32 vcc_lo, 0, v6
	v_cndmask_b32_e64 v8, v6, -v6, vcc_lo
	v_cmp_gt_f32_e32 vcc_lo, 0, v7
	v_cndmask_b32_e64 v9, v7, -v7, vcc_lo
	s_delay_alu instid0(VALU_DEP_1)
	v_cmpx_ngt_f32_e32 v8, v9
	s_xor_b32 s5, exec_lo, s2
	s_cbranch_execz .LBB28_69
; %bb.66:
	v_mov_b32_e32 v10, 0
	s_mov_b32 s6, exec_lo
	v_cmpx_neq_f32_e32 0, v7
	s_cbranch_execz .LBB28_68
; %bb.67:
	v_div_scale_f32 v10, null, v9, v9, v8
	v_div_scale_f32 v13, vcc_lo, v8, v9, v8
	s_delay_alu instid0(VALU_DEP_2) | instskip(SKIP_1) | instid1(TRANS32_DEP_1)
	v_rcp_f32_e32 v11, v10
	v_nop
	v_fma_f32 v12, -v10, v11, 1.0
	s_delay_alu instid0(VALU_DEP_1) | instskip(NEXT) | instid1(VALU_DEP_1)
	v_fmac_f32_e32 v11, v12, v11
	v_mul_f32_e32 v12, v13, v11
	s_delay_alu instid0(VALU_DEP_1) | instskip(NEXT) | instid1(VALU_DEP_1)
	v_fma_f32 v16, -v10, v12, v13
	v_fmac_f32_e32 v12, v16, v11
	s_delay_alu instid0(VALU_DEP_1) | instskip(NEXT) | instid1(VALU_DEP_1)
	v_fma_f32 v10, -v10, v12, v13
	v_div_fmas_f32 v10, v10, v11, v12
	s_delay_alu instid0(VALU_DEP_1) | instskip(NEXT) | instid1(VALU_DEP_1)
	v_div_fixup_f32 v8, v10, v9, v8
	v_fma_f32 v8, v8, v8, 1.0
	s_delay_alu instid0(VALU_DEP_1) | instskip(SKIP_1) | instid1(VALU_DEP_2)
	v_mul_f32_e32 v10, 0x4f800000, v8
	v_cmp_gt_f32_e32 vcc_lo, 0xf800000, v8
	v_cndmask_b32_e32 v8, v8, v10, vcc_lo
	s_delay_alu instid0(VALU_DEP_1) | instskip(SKIP_1) | instid1(TRANS32_DEP_1)
	v_sqrt_f32_e32 v10, v8
	v_nop
	v_dual_add_nc_u32 v11, -1, v10 :: v_dual_add_nc_u32 v12, 1, v10
	s_delay_alu instid0(VALU_DEP_1) | instskip(NEXT) | instid1(VALU_DEP_1)
	v_fma_f32 v13, -v11, v10, v8
	v_cmp_ge_f32_e64 s2, 0, v13
	s_delay_alu instid0(VALU_DEP_1) | instskip(NEXT) | instid1(VALU_DEP_1)
	v_dual_fma_f32 v16, -v12, v10, v8 :: v_dual_cndmask_b32 v10, v10, v11, s2
	v_cmp_lt_f32_e64 s2, 0, v16
	s_delay_alu instid0(VALU_DEP_1) | instskip(NEXT) | instid1(VALU_DEP_1)
	v_cndmask_b32_e64 v10, v10, v12, s2
	v_mul_f32_e32 v11, 0x37800000, v10
	s_delay_alu instid0(VALU_DEP_1) | instskip(SKIP_1) | instid1(VALU_DEP_2)
	v_cndmask_b32_e32 v10, v10, v11, vcc_lo
	v_cmp_class_f32_e64 vcc_lo, v8, 0x260
	v_cndmask_b32_e32 v8, v10, v8, vcc_lo
	s_delay_alu instid0(VALU_DEP_1)
	v_mul_f32_e32 v10, v9, v8
.LBB28_68:
	s_or_b32 exec_lo, exec_lo, s6
                                        ; implicit-def: $vgpr8
                                        ; implicit-def: $vgpr9
.LBB28_69:
	s_and_not1_saveexec_b32 s5, s5
	s_cbranch_execz .LBB28_71
; %bb.70:
	v_div_scale_f32 v10, null, v8, v8, v9
	v_div_scale_f32 v13, vcc_lo, v9, v8, v9
	s_delay_alu instid0(VALU_DEP_2) | instskip(SKIP_1) | instid1(TRANS32_DEP_1)
	v_rcp_f32_e32 v11, v10
	v_nop
	v_fma_f32 v12, -v10, v11, 1.0
	s_delay_alu instid0(VALU_DEP_1) | instskip(NEXT) | instid1(VALU_DEP_1)
	v_fmac_f32_e32 v11, v12, v11
	v_mul_f32_e32 v12, v13, v11
	s_delay_alu instid0(VALU_DEP_1) | instskip(NEXT) | instid1(VALU_DEP_1)
	v_fma_f32 v16, -v10, v12, v13
	v_fmac_f32_e32 v12, v16, v11
	s_delay_alu instid0(VALU_DEP_1) | instskip(NEXT) | instid1(VALU_DEP_1)
	v_fma_f32 v10, -v10, v12, v13
	v_div_fmas_f32 v10, v10, v11, v12
	s_delay_alu instid0(VALU_DEP_1) | instskip(NEXT) | instid1(VALU_DEP_1)
	v_div_fixup_f32 v9, v10, v8, v9
	v_fma_f32 v9, v9, v9, 1.0
	s_delay_alu instid0(VALU_DEP_1) | instskip(SKIP_1) | instid1(VALU_DEP_2)
	v_mul_f32_e32 v10, 0x4f800000, v9
	v_cmp_gt_f32_e32 vcc_lo, 0xf800000, v9
	v_cndmask_b32_e32 v9, v9, v10, vcc_lo
	s_delay_alu instid0(VALU_DEP_1) | instskip(SKIP_1) | instid1(TRANS32_DEP_1)
	v_sqrt_f32_e32 v10, v9
	v_nop
	v_dual_add_nc_u32 v11, -1, v10 :: v_dual_add_nc_u32 v12, 1, v10
	s_delay_alu instid0(VALU_DEP_1) | instskip(NEXT) | instid1(VALU_DEP_1)
	v_fma_f32 v13, -v11, v10, v9
	v_cmp_ge_f32_e64 s2, 0, v13
	s_delay_alu instid0(VALU_DEP_1) | instskip(NEXT) | instid1(VALU_DEP_1)
	v_dual_fma_f32 v16, -v12, v10, v9 :: v_dual_cndmask_b32 v10, v10, v11, s2
	v_cmp_lt_f32_e64 s2, 0, v16
	s_delay_alu instid0(VALU_DEP_1) | instskip(NEXT) | instid1(VALU_DEP_1)
	v_cndmask_b32_e64 v10, v10, v12, s2
	v_mul_f32_e32 v11, 0x37800000, v10
	s_delay_alu instid0(VALU_DEP_1) | instskip(SKIP_1) | instid1(VALU_DEP_2)
	v_cndmask_b32_e32 v10, v10, v11, vcc_lo
	v_cmp_class_f32_e64 vcc_lo, v9, 0x260
	v_cndmask_b32_e32 v9, v10, v9, vcc_lo
	s_delay_alu instid0(VALU_DEP_1)
	v_mul_f32_e32 v10, v8, v9
.LBB28_71:
	s_or_b32 exec_lo, exec_lo, s5
	s_delay_alu instid0(VALU_DEP_1)
	v_cvt_f64_f32_e32 v[8:9], v10
	v_cmp_ne_u32_e32 vcc_lo, 1, v15
	v_cmp_eq_u32_e64 s2, 0, v14
	s_mov_b32 s5, -1
	s_cbranch_vccnz .LBB28_75
; %bb.72:
	v_cvt_f64_f32_e32 v[10:11], s29
	s_cmp_eq_u64 s[20:21], 8
	s_cselect_b32 vcc_lo, -1, 0
	s_delay_alu instid0(VALU_DEP_1) | instskip(NEXT) | instid1(VALU_DEP_1)
	v_dual_cndmask_b32 v3, v11, v3 :: v_dual_cndmask_b32 v2, v10, v2
	v_cmp_ge_f64_e32 vcc_lo, v[2:3], v[8:9]
	s_and_b32 s6, s2, vcc_lo
	s_delay_alu instid0(SALU_CYCLE_1)
	s_and_saveexec_b32 s5, s6
	s_cbranch_execz .LBB28_74
; %bb.73:
	v_lshl_add_u64 v[2:3], v[4:5], 3, s[8:9]
	v_dual_mov_b32 v4, s3 :: v_dual_mov_b32 v5, s22
	global_store_b64 v[2:3], v[4:5], off
	global_wb scope:SCOPE_DEV
	s_wait_storecnt 0x0
	global_inv scope:SCOPE_DEV
.LBB28_74:
	s_wait_xcnt 0x0
	s_or_b32 exec_lo, exec_lo, s5
	s_mov_b32 s5, 0
.LBB28_75:
	s_delay_alu instid0(SALU_CYCLE_1)
	s_and_not1_b32 vcc_lo, exec_lo, s5
	s_cbranch_vccnz .LBB28_86
; %bb.76:
	s_load_b64 s[0:1], s[0:1], 0x48
	v_add_nc_u32_e32 v2, s28, v0
	s_wait_kmcnt 0x0
	v_cmp_ge_f64_e32 vcc_lo, s[0:1], v[8:9]
	s_and_b32 s1, s2, vcc_lo
	s_delay_alu instid0(SALU_CYCLE_1)
	s_and_saveexec_b32 s0, s1
	s_cbranch_execz .LBB28_81
; %bb.77:
	s_mov_b32 s3, exec_lo
	s_brev_b32 s1, -2
.LBB28_78:                              ; =>This Inner Loop Header: Depth=1
	s_ctz_i32_b32 s5, s3
	s_delay_alu instid0(SALU_CYCLE_1) | instskip(SKIP_1) | instid1(SALU_CYCLE_1)
	v_readlane_b32 s6, v2, s5
	s_lshl_b32 s5, 1, s5
	s_and_not1_b32 s3, s3, s5
	s_min_i32 s1, s1, s6
	s_cmp_lg_u32 s3, 0
	s_cbranch_scc1 .LBB28_78
; %bb.79:
	v_mbcnt_lo_u32_b32 v3, exec_lo, 0
	s_mov_b32 s3, exec_lo
	s_delay_alu instid0(VALU_DEP_1)
	v_cmpx_eq_u32_e32 0, v3
	s_xor_b32 s3, exec_lo, s3
	s_cbranch_execz .LBB28_81
; %bb.80:
	v_dual_mov_b32 v3, 0 :: v_dual_mov_b32 v4, s1
	global_atomic_min_i32 v3, v4, s[18:19] scope:SCOPE_DEV
.LBB28_81:
	s_wait_xcnt 0x0
	s_or_b32 exec_lo, exec_lo, s0
	v_cmp_eq_f32_e32 vcc_lo, 0, v6
	v_cmp_eq_f32_e64 s0, 0, v7
	s_and_b32 s0, vcc_lo, s0
	s_delay_alu instid0(SALU_CYCLE_1) | instskip(NEXT) | instid1(SALU_CYCLE_1)
	s_and_b32 s0, s2, s0
	s_and_b32 exec_lo, exec_lo, s0
	s_cbranch_execz .LBB28_86
; %bb.82:
	s_mov_b32 s1, exec_lo
	s_brev_b32 s0, -2
.LBB28_83:                              ; =>This Inner Loop Header: Depth=1
	s_ctz_i32_b32 s2, s1
	s_delay_alu instid0(SALU_CYCLE_1) | instskip(SKIP_1) | instid1(SALU_CYCLE_1)
	v_readlane_b32 s3, v2, s2
	s_lshl_b32 s2, 1, s2
	s_and_not1_b32 s1, s1, s2
	s_min_i32 s0, s0, s3
	s_cmp_lg_u32 s1, 0
	s_cbranch_scc1 .LBB28_83
; %bb.84:
	v_mbcnt_lo_u32_b32 v2, exec_lo, 0
	s_mov_b32 s1, exec_lo
	s_delay_alu instid0(VALU_DEP_1)
	v_cmpx_eq_u32_e32 0, v2
	s_xor_b32 s1, exec_lo, s1
	s_cbranch_execz .LBB28_86
; %bb.85:
	v_dual_mov_b32 v2, 0 :: v_dual_mov_b32 v3, s0
	global_atomic_min_i32 v2, v3, s[16:17] scope:SCOPE_DEV
.LBB28_86:
	s_wait_xcnt 0x0
	s_or_b32 exec_lo, exec_lo, s4
	v_cmp_eq_u32_e32 vcc_lo, 0, v14
	global_wb scope:SCOPE_DEV
	s_wait_loadcnt 0x0
	s_wait_storecnt 0x0
	global_inv scope:SCOPE_DEV
	s_and_b32 exec_lo, exec_lo, vcc_lo
	s_cbranch_execz .LBB28_88
; %bb.87:
	v_lshl_add_u64 v[0:1], v[0:1], 2, s[12:13]
	v_mov_b32_e32 v2, 1
	global_wb scope:SCOPE_DEV
	s_wait_loadcnt 0x0
	s_wait_storecnt 0x0
	global_store_b32 v[0:1], v2, off scope:SCOPE_DEV
.LBB28_88:
	s_endpgm
	.section	.rodata,"a",@progbits
	.p2align	6, 0x0
	.amdhsa_kernel _ZN9rocsparseL12csrilu0_hashILj256ELj32ELj2E21rocsparse_complex_numIfEEEviPKiS4_PT2_S4_PiS4_S7_S7_d21rocsparse_index_base_imNS_24const_host_device_scalarIfEENS9_IdEENS9_IS5_EEb
		.amdhsa_group_segment_fixed_size 4096
		.amdhsa_private_segment_fixed_size 0
		.amdhsa_kernarg_size 124
		.amdhsa_user_sgpr_count 2
		.amdhsa_user_sgpr_dispatch_ptr 0
		.amdhsa_user_sgpr_queue_ptr 0
		.amdhsa_user_sgpr_kernarg_segment_ptr 1
		.amdhsa_user_sgpr_dispatch_id 0
		.amdhsa_user_sgpr_kernarg_preload_length 0
		.amdhsa_user_sgpr_kernarg_preload_offset 0
		.amdhsa_user_sgpr_private_segment_size 0
		.amdhsa_wavefront_size32 1
		.amdhsa_uses_dynamic_stack 0
		.amdhsa_enable_private_segment 0
		.amdhsa_system_sgpr_workgroup_id_x 1
		.amdhsa_system_sgpr_workgroup_id_y 0
		.amdhsa_system_sgpr_workgroup_id_z 0
		.amdhsa_system_sgpr_workgroup_info 0
		.amdhsa_system_vgpr_workitem_id 0
		.amdhsa_next_free_vgpr 25
		.amdhsa_next_free_sgpr 42
		.amdhsa_named_barrier_count 0
		.amdhsa_reserve_vcc 1
		.amdhsa_float_round_mode_32 0
		.amdhsa_float_round_mode_16_64 0
		.amdhsa_float_denorm_mode_32 3
		.amdhsa_float_denorm_mode_16_64 3
		.amdhsa_fp16_overflow 0
		.amdhsa_memory_ordered 1
		.amdhsa_forward_progress 1
		.amdhsa_inst_pref_size 28
		.amdhsa_round_robin_scheduling 0
		.amdhsa_exception_fp_ieee_invalid_op 0
		.amdhsa_exception_fp_denorm_src 0
		.amdhsa_exception_fp_ieee_div_zero 0
		.amdhsa_exception_fp_ieee_overflow 0
		.amdhsa_exception_fp_ieee_underflow 0
		.amdhsa_exception_fp_ieee_inexact 0
		.amdhsa_exception_int_div_zero 0
	.end_amdhsa_kernel
	.section	.text._ZN9rocsparseL12csrilu0_hashILj256ELj32ELj2E21rocsparse_complex_numIfEEEviPKiS4_PT2_S4_PiS4_S7_S7_d21rocsparse_index_base_imNS_24const_host_device_scalarIfEENS9_IdEENS9_IS5_EEb,"axG",@progbits,_ZN9rocsparseL12csrilu0_hashILj256ELj32ELj2E21rocsparse_complex_numIfEEEviPKiS4_PT2_S4_PiS4_S7_S7_d21rocsparse_index_base_imNS_24const_host_device_scalarIfEENS9_IdEENS9_IS5_EEb,comdat
.Lfunc_end28:
	.size	_ZN9rocsparseL12csrilu0_hashILj256ELj32ELj2E21rocsparse_complex_numIfEEEviPKiS4_PT2_S4_PiS4_S7_S7_d21rocsparse_index_base_imNS_24const_host_device_scalarIfEENS9_IdEENS9_IS5_EEb, .Lfunc_end28-_ZN9rocsparseL12csrilu0_hashILj256ELj32ELj2E21rocsparse_complex_numIfEEEviPKiS4_PT2_S4_PiS4_S7_S7_d21rocsparse_index_base_imNS_24const_host_device_scalarIfEENS9_IdEENS9_IS5_EEb
                                        ; -- End function
	.set _ZN9rocsparseL12csrilu0_hashILj256ELj32ELj2E21rocsparse_complex_numIfEEEviPKiS4_PT2_S4_PiS4_S7_S7_d21rocsparse_index_base_imNS_24const_host_device_scalarIfEENS9_IdEENS9_IS5_EEb.num_vgpr, 25
	.set _ZN9rocsparseL12csrilu0_hashILj256ELj32ELj2E21rocsparse_complex_numIfEEEviPKiS4_PT2_S4_PiS4_S7_S7_d21rocsparse_index_base_imNS_24const_host_device_scalarIfEENS9_IdEENS9_IS5_EEb.num_agpr, 0
	.set _ZN9rocsparseL12csrilu0_hashILj256ELj32ELj2E21rocsparse_complex_numIfEEEviPKiS4_PT2_S4_PiS4_S7_S7_d21rocsparse_index_base_imNS_24const_host_device_scalarIfEENS9_IdEENS9_IS5_EEb.numbered_sgpr, 42
	.set _ZN9rocsparseL12csrilu0_hashILj256ELj32ELj2E21rocsparse_complex_numIfEEEviPKiS4_PT2_S4_PiS4_S7_S7_d21rocsparse_index_base_imNS_24const_host_device_scalarIfEENS9_IdEENS9_IS5_EEb.num_named_barrier, 0
	.set _ZN9rocsparseL12csrilu0_hashILj256ELj32ELj2E21rocsparse_complex_numIfEEEviPKiS4_PT2_S4_PiS4_S7_S7_d21rocsparse_index_base_imNS_24const_host_device_scalarIfEENS9_IdEENS9_IS5_EEb.private_seg_size, 0
	.set _ZN9rocsparseL12csrilu0_hashILj256ELj32ELj2E21rocsparse_complex_numIfEEEviPKiS4_PT2_S4_PiS4_S7_S7_d21rocsparse_index_base_imNS_24const_host_device_scalarIfEENS9_IdEENS9_IS5_EEb.uses_vcc, 1
	.set _ZN9rocsparseL12csrilu0_hashILj256ELj32ELj2E21rocsparse_complex_numIfEEEviPKiS4_PT2_S4_PiS4_S7_S7_d21rocsparse_index_base_imNS_24const_host_device_scalarIfEENS9_IdEENS9_IS5_EEb.uses_flat_scratch, 0
	.set _ZN9rocsparseL12csrilu0_hashILj256ELj32ELj2E21rocsparse_complex_numIfEEEviPKiS4_PT2_S4_PiS4_S7_S7_d21rocsparse_index_base_imNS_24const_host_device_scalarIfEENS9_IdEENS9_IS5_EEb.has_dyn_sized_stack, 0
	.set _ZN9rocsparseL12csrilu0_hashILj256ELj32ELj2E21rocsparse_complex_numIfEEEviPKiS4_PT2_S4_PiS4_S7_S7_d21rocsparse_index_base_imNS_24const_host_device_scalarIfEENS9_IdEENS9_IS5_EEb.has_recursion, 0
	.set _ZN9rocsparseL12csrilu0_hashILj256ELj32ELj2E21rocsparse_complex_numIfEEEviPKiS4_PT2_S4_PiS4_S7_S7_d21rocsparse_index_base_imNS_24const_host_device_scalarIfEENS9_IdEENS9_IS5_EEb.has_indirect_call, 0
	.section	.AMDGPU.csdata,"",@progbits
; Kernel info:
; codeLenInByte = 3472
; TotalNumSgprs: 44
; NumVgprs: 25
; ScratchSize: 0
; MemoryBound: 0
; FloatMode: 240
; IeeeMode: 1
; LDSByteSize: 4096 bytes/workgroup (compile time only)
; SGPRBlocks: 0
; VGPRBlocks: 1
; NumSGPRsForWavesPerEU: 44
; NumVGPRsForWavesPerEU: 25
; NamedBarCnt: 0
; Occupancy: 16
; WaveLimiterHint : 1
; COMPUTE_PGM_RSRC2:SCRATCH_EN: 0
; COMPUTE_PGM_RSRC2:USER_SGPR: 2
; COMPUTE_PGM_RSRC2:TRAP_HANDLER: 0
; COMPUTE_PGM_RSRC2:TGID_X_EN: 1
; COMPUTE_PGM_RSRC2:TGID_Y_EN: 0
; COMPUTE_PGM_RSRC2:TGID_Z_EN: 0
; COMPUTE_PGM_RSRC2:TIDIG_COMP_CNT: 0
	.section	.text._ZN9rocsparseL12csrilu0_hashILj256ELj32ELj4E21rocsparse_complex_numIfEEEviPKiS4_PT2_S4_PiS4_S7_S7_d21rocsparse_index_base_imNS_24const_host_device_scalarIfEENS9_IdEENS9_IS5_EEb,"axG",@progbits,_ZN9rocsparseL12csrilu0_hashILj256ELj32ELj4E21rocsparse_complex_numIfEEEviPKiS4_PT2_S4_PiS4_S7_S7_d21rocsparse_index_base_imNS_24const_host_device_scalarIfEENS9_IdEENS9_IS5_EEb,comdat
	.globl	_ZN9rocsparseL12csrilu0_hashILj256ELj32ELj4E21rocsparse_complex_numIfEEEviPKiS4_PT2_S4_PiS4_S7_S7_d21rocsparse_index_base_imNS_24const_host_device_scalarIfEENS9_IdEENS9_IS5_EEb ; -- Begin function _ZN9rocsparseL12csrilu0_hashILj256ELj32ELj4E21rocsparse_complex_numIfEEEviPKiS4_PT2_S4_PiS4_S7_S7_d21rocsparse_index_base_imNS_24const_host_device_scalarIfEENS9_IdEENS9_IS5_EEb
	.p2align	8
	.type	_ZN9rocsparseL12csrilu0_hashILj256ELj32ELj4E21rocsparse_complex_numIfEEEviPKiS4_PT2_S4_PiS4_S7_S7_d21rocsparse_index_base_imNS_24const_host_device_scalarIfEENS9_IdEENS9_IS5_EEb,@function
_ZN9rocsparseL12csrilu0_hashILj256ELj32ELj4E21rocsparse_complex_numIfEEEviPKiS4_PT2_S4_PiS4_S7_S7_d21rocsparse_index_base_imNS_24const_host_device_scalarIfEENS9_IdEENS9_IS5_EEb: ; @_ZN9rocsparseL12csrilu0_hashILj256ELj32ELj4E21rocsparse_complex_numIfEEEviPKiS4_PT2_S4_PiS4_S7_S7_d21rocsparse_index_base_imNS_24const_host_device_scalarIfEENS9_IdEENS9_IS5_EEb
; %bb.0:
	s_clause 0x2
	s_load_b32 s2, s[0:1], 0x78
	s_load_b64 s[28:29], s[0:1], 0x50
	s_load_b256 s[20:27], s[0:1], 0x58
	s_wait_kmcnt 0x0
	s_bitcmp1_b32 s2, 0
	s_cselect_b32 s4, -1, 0
	s_cmp_eq_u32 s29, 0
	s_cselect_b32 s2, -1, 0
	s_cmp_lg_u32 s29, 0
	s_cselect_b32 s5, -1, 0
	s_or_b32 s7, s2, s4
	s_delay_alu instid0(SALU_CYCLE_1)
	s_xor_b32 s6, s7, -1
	s_and_b32 s2, s2, exec_lo
	s_cselect_b32 s3, 0, s25
	s_cselect_b32 s2, 0, s24
	s_cselect_b32 s29, 0, s22
	s_and_b32 vcc_lo, exec_lo, s7
	s_cbranch_vccnz .LBB29_2
; %bb.1:
	s_load_b32 s29, s[22:23], 0x0
	s_mov_b64 s[2:3], s[24:25]
.LBB29_2:
	s_delay_alu instid0(SALU_CYCLE_1)
	v_mov_b64_e32 v[2:3], s[2:3]
	s_and_not1_b32 vcc_lo, exec_lo, s6
	s_cbranch_vccnz .LBB29_4
; %bb.3:
	v_mov_b32_e32 v1, 0
	flat_load_b64 v[2:3], v1, s[24:25]
.LBB29_4:
	v_cndmask_b32_e64 v15, 0, 1, s5
	s_mov_b32 s3, 0
	s_and_not1_b32 vcc_lo, exec_lo, s5
	s_wait_xcnt 0x0
	s_mov_b32 s22, 0
	s_cbranch_vccnz .LBB29_10
; %bb.5:
	s_xor_b32 s2, s4, -1
	s_mov_b32 s3, s26
	v_cndmask_b32_e64 v1, 0, 1, s2
	s_and_not1_b32 vcc_lo, exec_lo, s2
	s_cbranch_vccnz .LBB29_7
; %bb.6:
	s_load_b32 s3, s[26:27], 0x0
.LBB29_7:
	s_delay_alu instid0(VALU_DEP_1)
	v_cmp_ne_u32_e32 vcc_lo, 1, v1
	s_cbranch_vccnz .LBB29_9
; %bb.8:
	s_wait_xcnt 0x0
	s_load_b32 s27, s[26:27], 0x4
.LBB29_9:
	s_wait_kmcnt 0x0
	s_mov_b32 s22, s27
.LBB29_10:
	s_load_b32 s2, s[0:1], 0x0
	s_bfe_u32 s4, ttmp6, 0x4000c
	v_dual_lshlrev_b32 v1, 2, v0 :: v_dual_bitop2_b32 v14, 31, v0 bitop3:0x40
	s_add_co_i32 s4, s4, 1
	s_and_b32 s5, ttmp6, 15
	s_mul_i32 s4, ttmp9, s4
	s_getreg_b32 s6, hwreg(HW_REG_IB_STS2, 6, 4)
	s_add_co_i32 s5, s5, s4
	s_cmp_eq_u32 s6, 0
	v_and_b32_e32 v9, 0x380, v1
	v_dual_lshrrev_b32 v0, 5, v0 :: v_dual_mov_b32 v4, -1
	s_cselect_b32 s4, ttmp9, s5
	s_delay_alu instid0(SALU_CYCLE_1) | instskip(NEXT) | instid1(VALU_DEP_2)
	s_lshl_b32 s4, s4, 3
	v_lshl_or_b32 v5, v9, 2, 0x1000
	s_delay_alu instid0(VALU_DEP_2) | instskip(NEXT) | instid1(VALU_DEP_2)
	v_and_or_b32 v0, 0x7fffff8, s4, v0
	v_lshl_or_b32 v1, v14, 2, v5
	s_wait_kmcnt 0x0
	s_delay_alu instid0(VALU_DEP_2)
	v_cmp_gt_i32_e32 vcc_lo, s2, v0
	ds_store_2addr_b32 v1, v4, v4 offset1:32
	ds_store_2addr_b32 v1, v4, v4 offset0:64 offset1:96
	s_wait_loadcnt_dscnt 0x0
	s_and_saveexec_b32 s2, vcc_lo
	s_cbranch_execz .LBB29_88
; %bb.11:
	s_load_b512 s[4:19], s[0:1], 0x8
	v_lshlrev_b32_e32 v16, 2, v9
	s_mov_b32 s2, exec_lo
	s_wait_kmcnt 0x0
	global_load_b32 v0, v0, s[14:15] scale_offset
	s_wait_loadcnt 0x0
	v_ashrrev_i32_e32 v1, 31, v0
	s_delay_alu instid0(VALU_DEP_1)
	v_lshl_add_u64 v[6:7], v[0:1], 2, s[4:5]
	global_load_b64 v[10:11], v[6:7], off
	global_load_b32 v4, v0, s[10:11] scale_offset
	s_wait_loadcnt 0x1
	s_wait_xcnt 0x1
	v_subrev_nc_u32_e32 v6, s28, v10
	v_subrev_nc_u32_e32 v7, s28, v11
	s_delay_alu instid0(VALU_DEP_2) | instskip(SKIP_1) | instid1(VALU_DEP_1)
	v_add_nc_u32_e32 v8, v6, v14
	s_wait_xcnt 0x0
	v_cmpx_lt_i32_e64 v8, v7
	s_cbranch_execz .LBB29_34
; %bb.12:
	v_mov_b32_e32 v9, -1
	s_mov_b32 s14, 0
	s_branch .LBB29_14
.LBB29_13:                              ;   in Loop: Header=BB29_14 Depth=1
	s_or_b32 exec_lo, exec_lo, s15
	v_add_nc_u32_e32 v8, 32, v8
	s_delay_alu instid0(VALU_DEP_1) | instskip(SKIP_1) | instid1(SALU_CYCLE_1)
	v_cmp_ge_i32_e32 vcc_lo, v8, v7
	s_or_b32 s14, vcc_lo, s14
	s_and_not1_b32 exec_lo, exec_lo, s14
	s_cbranch_execz .LBB29_34
.LBB29_14:                              ; =>This Loop Header: Depth=1
                                        ;     Child Loop BB29_23 Depth 2
	global_load_b32 v10, v8, s[6:7] scale_offset
	v_mov_b32_e32 v11, 0x80
	s_mov_b32 s15, 0
                                        ; implicit-def: $sgpr23
                                        ; implicit-def: $sgpr24
                                        ; implicit-def: $sgpr25
	s_wait_loadcnt 0x0
	v_mul_lo_u32 v13, 0x67, v10
	s_branch .LBB29_23
.LBB29_15:                              ;   in Loop: Header=BB29_23 Depth=2
	s_or_b32 exec_lo, exec_lo, s38
	s_delay_alu instid0(SALU_CYCLE_1)
	s_or_not1_b32 s36, s36, exec_lo
	s_or_not1_b32 s37, s37, exec_lo
.LBB29_16:                              ;   in Loop: Header=BB29_23 Depth=2
	s_or_b32 exec_lo, exec_lo, s35
	s_delay_alu instid0(SALU_CYCLE_1)
	s_and_b32 s36, s36, exec_lo
	s_or_not1_b32 s35, s37, exec_lo
.LBB29_17:                              ;   in Loop: Header=BB29_23 Depth=2
	s_or_b32 exec_lo, exec_lo, s34
	s_delay_alu instid0(SALU_CYCLE_1)
	s_or_not1_b32 s34, s36, exec_lo
	s_or_not1_b32 s35, s35, exec_lo
.LBB29_18:                              ;   in Loop: Header=BB29_23 Depth=2
	s_or_b32 exec_lo, exec_lo, s33
	s_delay_alu instid0(SALU_CYCLE_1)
	s_and_b32 s34, s34, exec_lo
	s_or_not1_b32 s33, s35, exec_lo
.LBB29_19:                              ;   in Loop: Header=BB29_23 Depth=2
	s_or_b32 exec_lo, exec_lo, s31
	s_delay_alu instid0(SALU_CYCLE_1)
	s_or_not1_b32 s31, s34, exec_lo
	s_or_not1_b32 s33, s33, exec_lo
.LBB29_20:                              ;   in Loop: Header=BB29_23 Depth=2
	s_or_b32 exec_lo, exec_lo, s30
	s_delay_alu instid0(SALU_CYCLE_1)
	s_and_b32 s31, s31, exec_lo
	s_or_not1_b32 s30, s33, exec_lo
.LBB29_21:                              ;   in Loop: Header=BB29_23 Depth=2
	s_or_b32 exec_lo, exec_lo, s27
	s_delay_alu instid0(SALU_CYCLE_1)
	s_and_not1_b32 s25, s25, exec_lo
	s_and_b32 s27, s31, exec_lo
	s_and_not1_b32 s24, s24, exec_lo
	s_and_b32 s30, s30, exec_lo
	s_or_b32 s25, s25, s27
	s_or_b32 s24, s24, s30
.LBB29_22:                              ;   in Loop: Header=BB29_23 Depth=2
	s_or_b32 exec_lo, exec_lo, s26
	s_delay_alu instid0(SALU_CYCLE_1) | instskip(NEXT) | instid1(SALU_CYCLE_1)
	s_and_b32 s26, exec_lo, s24
	s_or_b32 s15, s26, s15
	s_and_not1_b32 s23, s23, exec_lo
	s_and_b32 s26, s25, exec_lo
	s_delay_alu instid0(SALU_CYCLE_1)
	s_or_b32 s23, s23, s26
	s_and_not1_b32 exec_lo, exec_lo, s15
	s_cbranch_execz .LBB29_32
.LBB29_23:                              ;   Parent Loop BB29_14 Depth=1
                                        ; =>  This Inner Loop Header: Depth=2
	s_delay_alu instid0(VALU_DEP_1) | instskip(SKIP_3) | instid1(VALU_DEP_1)
	v_and_b32_e32 v12, 0x7f, v13
	s_or_b32 s25, s25, exec_lo
	s_or_b32 s24, s24, exec_lo
	s_mov_b32 s26, exec_lo
	v_lshl_add_u32 v17, v12, 2, v5
	ds_load_b32 v18, v17
	s_wait_dscnt 0x0
	s_wait_xcnt 0x0
	v_cmpx_ne_u32_e64 v18, v10
	s_cbranch_execz .LBB29_22
; %bb.24:                               ;   in Loop: Header=BB29_23 Depth=2
	ds_cmpstore_rtn_b32 v17, v17, v10, v9
	s_mov_b32 s30, -1
	s_mov_b32 s31, 0
	s_mov_b32 s27, exec_lo
	s_wait_dscnt 0x0
	v_cmpx_ne_u32_e32 -1, v17
	s_cbranch_execz .LBB29_21
; %bb.25:                               ;   in Loop: Header=BB29_23 Depth=2
	v_add_nc_u32_e32 v12, 1, v13
	s_mov_b32 s33, -1
	s_mov_b32 s31, -1
	s_mov_b32 s30, exec_lo
	s_delay_alu instid0(VALU_DEP_1) | instskip(NEXT) | instid1(VALU_DEP_1)
	v_and_b32_e32 v12, 0x7f, v12
	v_lshl_add_u32 v17, v12, 2, v5
	ds_load_b32 v18, v17
	s_wait_dscnt 0x0
	v_cmpx_ne_u32_e64 v18, v10
	s_cbranch_execz .LBB29_20
; %bb.26:                               ;   in Loop: Header=BB29_23 Depth=2
	ds_cmpstore_rtn_b32 v17, v17, v10, v9
	s_mov_b32 s34, 0
	s_mov_b32 s31, exec_lo
	s_wait_dscnt 0x0
	v_cmpx_ne_u32_e32 -1, v17
	s_cbranch_execz .LBB29_19
; %bb.27:                               ;   in Loop: Header=BB29_23 Depth=2
	v_add_nc_u32_e32 v12, 2, v13
	s_mov_b32 s35, -1
	s_mov_b32 s34, -1
	s_mov_b32 s33, exec_lo
	s_delay_alu instid0(VALU_DEP_1) | instskip(NEXT) | instid1(VALU_DEP_1)
	v_and_b32_e32 v12, 0x7f, v12
	v_lshl_add_u32 v17, v12, 2, v5
	ds_load_b32 v18, v17
	s_wait_dscnt 0x0
	v_cmpx_ne_u32_e64 v18, v10
	s_cbranch_execz .LBB29_18
; %bb.28:                               ;   in Loop: Header=BB29_23 Depth=2
	ds_cmpstore_rtn_b32 v17, v17, v10, v9
	s_mov_b32 s36, 0
	s_mov_b32 s34, exec_lo
	s_wait_dscnt 0x0
	v_cmpx_ne_u32_e32 -1, v17
	s_cbranch_execz .LBB29_17
; %bb.29:                               ;   in Loop: Header=BB29_23 Depth=2
	v_add_nc_u32_e32 v12, 3, v13
	s_mov_b32 s37, -1
	s_mov_b32 s36, -1
	s_delay_alu instid0(VALU_DEP_1) | instskip(NEXT) | instid1(VALU_DEP_1)
	v_and_b32_e32 v12, 0x7f, v12
	v_lshl_add_u32 v17, v12, 2, v5
	ds_load_b32 v13, v17
	s_wait_dscnt 0x0
	v_cmp_ne_u32_e32 vcc_lo, v13, v10
                                        ; implicit-def: $vgpr13
	s_and_saveexec_b32 s35, vcc_lo
	s_cbranch_execz .LBB29_16
; %bb.30:                               ;   in Loop: Header=BB29_23 Depth=2
	ds_cmpstore_rtn_b32 v13, v17, v10, v9
	s_mov_b32 s36, 0
	s_wait_dscnt 0x0
	v_cmp_ne_u32_e32 vcc_lo, -1, v13
                                        ; implicit-def: $vgpr13
	s_and_saveexec_b32 s38, vcc_lo
	s_cbranch_execz .LBB29_15
; %bb.31:                               ;   in Loop: Header=BB29_23 Depth=2
	v_dual_add_nc_u32 v11, -4, v11 :: v_dual_add_nc_u32 v13, 1, v12
	s_mov_b32 s36, exec_lo
	s_delay_alu instid0(VALU_DEP_1)
	v_cmp_eq_u32_e32 vcc_lo, 0, v11
	s_or_not1_b32 s37, vcc_lo, exec_lo
	s_branch .LBB29_15
.LBB29_32:                              ;   in Loop: Header=BB29_14 Depth=1
	s_or_b32 exec_lo, exec_lo, s15
	s_xor_b32 s15, s23, -1
	s_delay_alu instid0(SALU_CYCLE_1) | instskip(NEXT) | instid1(SALU_CYCLE_1)
	s_and_saveexec_b32 s23, s15
	s_xor_b32 s15, exec_lo, s23
	s_cbranch_execz .LBB29_13
; %bb.33:                               ;   in Loop: Header=BB29_14 Depth=1
	v_lshl_add_u32 v10, v12, 2, v16
	ds_store_b32 v10, v8
	s_branch .LBB29_13
.LBB29_34:
	s_or_b32 exec_lo, exec_lo, s2
	s_delay_alu instid0(SALU_CYCLE_1)
	s_mov_b32 s14, exec_lo
	s_wait_loadcnt_dscnt 0x0
	v_cmpx_lt_i32_e64 v6, v4
	s_cbranch_execz .LBB29_64
; %bb.35:
	v_add_nc_u32_e32 v17, 1, v14
	s_mov_b32 s15, 0
	s_branch .LBB29_38
.LBB29_36:                              ;   in Loop: Header=BB29_38 Depth=1
	s_or_b32 exec_lo, exec_lo, s23
	v_add_nc_u32_e32 v6, 1, v6
	s_delay_alu instid0(VALU_DEP_1)
	v_cmp_ge_i32_e32 vcc_lo, v6, v4
	s_or_not1_b32 s23, vcc_lo, exec_lo
.LBB29_37:                              ;   in Loop: Header=BB29_38 Depth=1
	s_or_b32 exec_lo, exec_lo, s2
	s_delay_alu instid0(SALU_CYCLE_1) | instskip(NEXT) | instid1(SALU_CYCLE_1)
	s_and_b32 s2, exec_lo, s23
	s_or_b32 s15, s2, s15
	s_delay_alu instid0(SALU_CYCLE_1)
	s_and_not1_b32 exec_lo, exec_lo, s15
	s_cbranch_execz .LBB29_64
.LBB29_38:                              ; =>This Loop Header: Depth=1
                                        ;     Child Loop BB29_39 Depth 2
                                        ;     Child Loop BB29_44 Depth 2
                                        ;       Child Loop BB29_53 Depth 3
	s_clause 0x1
	global_load_b32 v7, v6, s[6:7] scale_offset
	global_load_b64 v[8:9], v6, s[8:9] scale_offset
	s_mov_b32 s2, 0
	s_wait_loadcnt 0x1
	v_subrev_nc_u32_e32 v10, s28, v7
	v_ashrrev_i32_e32 v7, 31, v6
	s_clause 0x1
	global_load_b32 v19, v10, s[4:5] offset:4 scale_offset
	global_load_b32 v18, v10, s[10:11] scale_offset
	v_ashrrev_i32_e32 v11, 31, v10
	v_lshl_add_u64 v[12:13], v[6:7], 3, s[8:9]
	s_wait_xcnt 0x0
	s_delay_alu instid0(VALU_DEP_2)
	v_lshl_add_u64 v[10:11], v[10:11], 2, s[12:13]
.LBB29_39:                              ;   Parent Loop BB29_38 Depth=1
                                        ; =>  This Inner Loop Header: Depth=2
	global_load_b32 v7, v[10:11], off scope:SCOPE_DEV
	s_wait_loadcnt 0x0
	v_cmp_ne_u32_e32 vcc_lo, 0, v7
	s_or_b32 s2, vcc_lo, s2
	s_wait_xcnt 0x0
	s_and_not1_b32 exec_lo, exec_lo, s2
	s_cbranch_execnz .LBB29_39
; %bb.40:                               ;   in Loop: Header=BB29_38 Depth=1
	s_or_b32 exec_lo, exec_lo, s2
	v_subrev_nc_u32_e32 v7, s28, v19
	v_cmp_eq_u32_e32 vcc_lo, -1, v18
	global_inv scope:SCOPE_DEV
	s_mov_b32 s23, -1
	v_add_nc_u32_e32 v10, -1, v7
	s_delay_alu instid0(VALU_DEP_1)
	v_cndmask_b32_e32 v18, v18, v10, vcc_lo
	global_load_b64 v[10:11], v18, s[8:9] scale_offset
	s_wait_loadcnt 0x0
	v_cmp_neq_f32_e32 vcc_lo, 0, v10
	v_cmp_neq_f32_e64 s2, 0, v11
	s_or_b32 s24, vcc_lo, s2
	s_wait_xcnt 0x0
	s_and_saveexec_b32 s2, s24
	s_cbranch_execz .LBB29_37
; %bb.41:                               ;   in Loop: Header=BB29_38 Depth=1
	v_mul_f32_e32 v19, v11, v11
	s_mov_b32 s23, exec_lo
	s_delay_alu instid0(VALU_DEP_1) | instskip(NEXT) | instid1(VALU_DEP_1)
	v_fmac_f32_e32 v19, v10, v10
	v_div_scale_f32 v20, null, v19, v19, 1.0
	v_div_scale_f32 v23, vcc_lo, 1.0, v19, 1.0
	s_delay_alu instid0(VALU_DEP_2) | instskip(SKIP_1) | instid1(TRANS32_DEP_1)
	v_rcp_f32_e32 v21, v20
	v_nop
	v_fma_f32 v22, -v20, v21, 1.0
	s_delay_alu instid0(VALU_DEP_1) | instskip(NEXT) | instid1(VALU_DEP_1)
	v_fmac_f32_e32 v21, v22, v21
	v_mul_f32_e32 v22, v23, v21
	s_delay_alu instid0(VALU_DEP_1) | instskip(NEXT) | instid1(VALU_DEP_1)
	v_fma_f32 v24, -v20, v22, v23
	v_fmac_f32_e32 v22, v24, v21
	s_delay_alu instid0(VALU_DEP_1) | instskip(NEXT) | instid1(VALU_DEP_1)
	v_dual_fma_f32 v23, -v20, v22, v23 :: v_dual_mov_b32 v20, v11
	v_div_fmas_f32 v11, v23, v21, v22
	s_delay_alu instid0(VALU_DEP_2) | instskip(NEXT) | instid1(VALU_DEP_2)
	v_pk_mul_f32 v[20:21], v[8:9], v[20:21] op_sel:[1,0] op_sel_hi:[0,0] neg_hi:[1,0]
	v_div_fixup_f32 v22, v11, v19, 1.0
	s_delay_alu instid0(VALU_DEP_2) | instskip(SKIP_1) | instid1(VALU_DEP_2)
	v_pk_fma_f32 v[10:11], v[8:9], v[10:11], v[20:21] op_sel_hi:[1,0,1]
	v_add_nc_u32_e32 v8, v17, v18
	v_pk_mul_f32 v[10:11], v[10:11], v[22:23] op_sel_hi:[1,0]
	global_store_b64 v[12:13], v[10:11], off
	s_wait_xcnt 0x0
	v_cmpx_lt_i32_e64 v8, v7
	s_cbranch_execz .LBB29_36
; %bb.42:                               ;   in Loop: Header=BB29_38 Depth=1
	v_xor_b32_e32 v13, 0x80000000, v10
	v_mov_b32_e32 v12, v11
	s_mov_b32 s24, 0
	s_branch .LBB29_44
.LBB29_43:                              ;   in Loop: Header=BB29_44 Depth=2
	s_wait_xcnt 0x0
	s_or_b32 exec_lo, exec_lo, s25
	v_add_nc_u32_e32 v8, 32, v8
	s_delay_alu instid0(VALU_DEP_1) | instskip(SKIP_1) | instid1(SALU_CYCLE_1)
	v_cmp_ge_i32_e32 vcc_lo, v8, v7
	s_or_b32 s24, vcc_lo, s24
	s_and_not1_b32 exec_lo, exec_lo, s24
	s_cbranch_execz .LBB29_36
.LBB29_44:                              ;   Parent Loop BB29_38 Depth=1
                                        ; =>  This Loop Header: Depth=2
                                        ;       Child Loop BB29_53 Depth 3
	global_load_b32 v18, v8, s[6:7] scale_offset
	v_ashrrev_i32_e32 v9, 31, v8
	v_mov_b32_e32 v19, 0x80
	s_mov_b32 s25, 0
                                        ; implicit-def: $sgpr26
                                        ; implicit-def: $sgpr27
                                        ; implicit-def: $sgpr30
	s_wait_loadcnt 0x0
	v_mul_lo_u32 v21, 0x67, v18
	s_branch .LBB29_53
.LBB29_45:                              ;   in Loop: Header=BB29_53 Depth=3
	s_or_b32 exec_lo, exec_lo, s41
	s_delay_alu instid0(SALU_CYCLE_1)
	s_or_not1_b32 s39, s39, exec_lo
	s_or_not1_b32 s40, s40, exec_lo
.LBB29_46:                              ;   in Loop: Header=BB29_53 Depth=3
	s_or_b32 exec_lo, exec_lo, s38
	s_delay_alu instid0(SALU_CYCLE_1)
	s_and_b32 s39, s39, exec_lo
	s_or_not1_b32 s38, s40, exec_lo
.LBB29_47:                              ;   in Loop: Header=BB29_53 Depth=3
	s_or_b32 exec_lo, exec_lo, s37
	s_delay_alu instid0(SALU_CYCLE_1)
	s_or_not1_b32 s37, s39, exec_lo
	s_or_not1_b32 s38, s38, exec_lo
.LBB29_48:                              ;   in Loop: Header=BB29_53 Depth=3
	s_or_b32 exec_lo, exec_lo, s36
	s_delay_alu instid0(SALU_CYCLE_1)
	s_and_b32 s37, s37, exec_lo
	s_or_not1_b32 s36, s38, exec_lo
.LBB29_49:                              ;   in Loop: Header=BB29_53 Depth=3
	s_or_b32 exec_lo, exec_lo, s35
	s_delay_alu instid0(SALU_CYCLE_1)
	s_or_not1_b32 s35, s37, exec_lo
	s_or_not1_b32 s36, s36, exec_lo
.LBB29_50:                              ;   in Loop: Header=BB29_53 Depth=3
	s_or_b32 exec_lo, exec_lo, s34
	s_delay_alu instid0(SALU_CYCLE_1)
	s_and_b32 s35, s35, exec_lo
	s_or_not1_b32 s34, s36, exec_lo
.LBB29_51:                              ;   in Loop: Header=BB29_53 Depth=3
	s_or_b32 exec_lo, exec_lo, s33
	s_delay_alu instid0(SALU_CYCLE_1)
	s_and_not1_b32 s30, s30, exec_lo
	s_and_b32 s33, s35, exec_lo
	s_and_not1_b32 s27, s27, exec_lo
	s_and_b32 s34, s34, exec_lo
	s_or_b32 s30, s30, s33
	s_or_b32 s27, s27, s34
.LBB29_52:                              ;   in Loop: Header=BB29_53 Depth=3
	s_or_b32 exec_lo, exec_lo, s31
	s_delay_alu instid0(SALU_CYCLE_1) | instskip(NEXT) | instid1(SALU_CYCLE_1)
	s_and_b32 s31, exec_lo, s27
	s_or_b32 s25, s31, s25
	s_and_not1_b32 s26, s26, exec_lo
	s_and_b32 s31, s30, exec_lo
	s_delay_alu instid0(SALU_CYCLE_1)
	s_or_b32 s26, s26, s31
	s_and_not1_b32 exec_lo, exec_lo, s25
	s_cbranch_execz .LBB29_62
.LBB29_53:                              ;   Parent Loop BB29_38 Depth=1
                                        ;     Parent Loop BB29_44 Depth=2
                                        ; =>    This Inner Loop Header: Depth=3
	s_delay_alu instid0(VALU_DEP_1) | instskip(SKIP_3) | instid1(VALU_DEP_1)
	v_and_b32_e32 v20, 0x7f, v21
	s_or_b32 s30, s30, exec_lo
	s_or_b32 s27, s27, exec_lo
	s_mov_b32 s31, exec_lo
	v_lshl_add_u32 v22, v20, 2, v5
	ds_load_b32 v22, v22
	s_wait_dscnt 0x0
	s_wait_xcnt 0x0
	v_cmpx_ne_u32_e32 -1, v22
	s_cbranch_execz .LBB29_52
; %bb.54:                               ;   in Loop: Header=BB29_53 Depth=3
	s_mov_b32 s34, -1
	s_mov_b32 s35, 0
	s_mov_b32 s33, exec_lo
	v_cmpx_ne_u32_e64 v22, v18
	s_cbranch_execz .LBB29_51
; %bb.55:                               ;   in Loop: Header=BB29_53 Depth=3
	v_add_nc_u32_e32 v20, 1, v21
	s_mov_b32 s36, -1
	s_mov_b32 s35, -1
	s_mov_b32 s34, exec_lo
	s_delay_alu instid0(VALU_DEP_1) | instskip(NEXT) | instid1(VALU_DEP_1)
	v_and_b32_e32 v20, 0x7f, v20
	v_lshl_add_u32 v22, v20, 2, v5
	ds_load_b32 v22, v22
	s_wait_dscnt 0x0
	v_cmpx_ne_u32_e32 -1, v22
	s_cbranch_execz .LBB29_50
; %bb.56:                               ;   in Loop: Header=BB29_53 Depth=3
	s_mov_b32 s37, 0
	s_mov_b32 s35, exec_lo
	v_cmpx_ne_u32_e64 v22, v18
	s_cbranch_execz .LBB29_49
; %bb.57:                               ;   in Loop: Header=BB29_53 Depth=3
	v_add_nc_u32_e32 v20, 2, v21
	s_mov_b32 s38, -1
	s_mov_b32 s37, -1
	s_mov_b32 s36, exec_lo
	s_delay_alu instid0(VALU_DEP_1) | instskip(NEXT) | instid1(VALU_DEP_1)
	v_and_b32_e32 v20, 0x7f, v20
	v_lshl_add_u32 v22, v20, 2, v5
	ds_load_b32 v22, v22
	s_wait_dscnt 0x0
	v_cmpx_ne_u32_e32 -1, v22
	s_cbranch_execz .LBB29_48
; %bb.58:                               ;   in Loop: Header=BB29_53 Depth=3
	s_mov_b32 s39, 0
	s_mov_b32 s37, exec_lo
	v_cmpx_ne_u32_e64 v22, v18
	s_cbranch_execz .LBB29_47
; %bb.59:                               ;   in Loop: Header=BB29_53 Depth=3
	v_add_nc_u32_e32 v20, 3, v21
	s_mov_b32 s40, -1
	s_mov_b32 s39, -1
	s_mov_b32 s38, exec_lo
	s_delay_alu instid0(VALU_DEP_1) | instskip(NEXT) | instid1(VALU_DEP_1)
	v_and_b32_e32 v20, 0x7f, v20
	v_lshl_add_u32 v21, v20, 2, v5
	ds_load_b32 v22, v21
                                        ; implicit-def: $vgpr21
	s_wait_dscnt 0x0
	v_cmpx_ne_u32_e32 -1, v22
	s_cbranch_execz .LBB29_46
; %bb.60:                               ;   in Loop: Header=BB29_53 Depth=3
	s_mov_b32 s39, 0
	s_mov_b32 s41, exec_lo
                                        ; implicit-def: $vgpr21
	v_cmpx_ne_u32_e64 v22, v18
	s_cbranch_execz .LBB29_45
; %bb.61:                               ;   in Loop: Header=BB29_53 Depth=3
	v_dual_add_nc_u32 v19, -4, v19 :: v_dual_add_nc_u32 v21, 1, v20
	s_mov_b32 s39, exec_lo
	s_delay_alu instid0(VALU_DEP_1)
	v_cmp_eq_u32_e32 vcc_lo, 0, v19
	s_or_not1_b32 s40, vcc_lo, exec_lo
	s_branch .LBB29_45
.LBB29_62:                              ;   in Loop: Header=BB29_44 Depth=2
	s_or_b32 exec_lo, exec_lo, s25
	s_xor_b32 s25, s26, -1
	s_delay_alu instid0(SALU_CYCLE_1) | instskip(NEXT) | instid1(SALU_CYCLE_1)
	s_and_saveexec_b32 s26, s25
	s_xor_b32 s25, exec_lo, s26
	s_cbranch_execz .LBB29_43
; %bb.63:                               ;   in Loop: Header=BB29_44 Depth=2
	v_lshl_add_u32 v18, v20, 2, v16
	ds_load_b32 v24, v18
	v_lshl_add_u64 v[18:19], v[8:9], 3, s[8:9]
	global_load_b64 v[20:21], v[18:19], off
	s_wait_dscnt 0x0
	global_load_b64 v[22:23], v24, s[8:9] scale_offset
	s_wait_loadcnt 0x0
	s_wait_xcnt 0x1
	v_pk_fma_f32 v[18:19], v[10:11], v[20:21], v[22:23] op_sel_hi:[1,0,1] neg_lo:[1,0,0] neg_hi:[1,0,0]
	s_delay_alu instid0(VALU_DEP_1)
	v_pk_fma_f32 v[18:19], v[12:13], v[20:21], v[18:19] op_sel:[0,1,0]
	global_store_b64 v24, v[18:19], s[8:9] scale_offset
	s_branch .LBB29_43
.LBB29_64:
	s_or_b32 exec_lo, exec_lo, s14
	s_delay_alu instid0(SALU_CYCLE_1)
	s_mov_b32 s4, exec_lo
	s_wait_storecnt 0x0
	v_cmpx_lt_i32_e32 -1, v4
	s_cbranch_execz .LBB29_86
; %bb.65:
	global_load_b64 v[6:7], v4, s[8:9] scale_offset
	v_mov_b32_e32 v5, 0
                                        ; implicit-def: $vgpr10
	s_mov_b32 s2, exec_lo
	s_wait_loadcnt 0x0
	v_cmp_gt_f32_e32 vcc_lo, 0, v6
	v_cndmask_b32_e64 v8, v6, -v6, vcc_lo
	v_cmp_gt_f32_e32 vcc_lo, 0, v7
	v_cndmask_b32_e64 v9, v7, -v7, vcc_lo
	s_delay_alu instid0(VALU_DEP_1)
	v_cmpx_ngt_f32_e32 v8, v9
	s_xor_b32 s5, exec_lo, s2
	s_cbranch_execz .LBB29_69
; %bb.66:
	v_mov_b32_e32 v10, 0
	s_mov_b32 s6, exec_lo
	v_cmpx_neq_f32_e32 0, v7
	s_cbranch_execz .LBB29_68
; %bb.67:
	v_div_scale_f32 v10, null, v9, v9, v8
	v_div_scale_f32 v13, vcc_lo, v8, v9, v8
	s_delay_alu instid0(VALU_DEP_2) | instskip(SKIP_1) | instid1(TRANS32_DEP_1)
	v_rcp_f32_e32 v11, v10
	v_nop
	v_fma_f32 v12, -v10, v11, 1.0
	s_delay_alu instid0(VALU_DEP_1) | instskip(NEXT) | instid1(VALU_DEP_1)
	v_fmac_f32_e32 v11, v12, v11
	v_mul_f32_e32 v12, v13, v11
	s_delay_alu instid0(VALU_DEP_1) | instskip(NEXT) | instid1(VALU_DEP_1)
	v_fma_f32 v16, -v10, v12, v13
	v_fmac_f32_e32 v12, v16, v11
	s_delay_alu instid0(VALU_DEP_1) | instskip(NEXT) | instid1(VALU_DEP_1)
	v_fma_f32 v10, -v10, v12, v13
	v_div_fmas_f32 v10, v10, v11, v12
	s_delay_alu instid0(VALU_DEP_1) | instskip(NEXT) | instid1(VALU_DEP_1)
	v_div_fixup_f32 v8, v10, v9, v8
	v_fma_f32 v8, v8, v8, 1.0
	s_delay_alu instid0(VALU_DEP_1) | instskip(SKIP_1) | instid1(VALU_DEP_2)
	v_mul_f32_e32 v10, 0x4f800000, v8
	v_cmp_gt_f32_e32 vcc_lo, 0xf800000, v8
	v_cndmask_b32_e32 v8, v8, v10, vcc_lo
	s_delay_alu instid0(VALU_DEP_1) | instskip(SKIP_1) | instid1(TRANS32_DEP_1)
	v_sqrt_f32_e32 v10, v8
	v_nop
	v_dual_add_nc_u32 v11, -1, v10 :: v_dual_add_nc_u32 v12, 1, v10
	s_delay_alu instid0(VALU_DEP_1) | instskip(NEXT) | instid1(VALU_DEP_1)
	v_fma_f32 v13, -v11, v10, v8
	v_cmp_ge_f32_e64 s2, 0, v13
	s_delay_alu instid0(VALU_DEP_1) | instskip(NEXT) | instid1(VALU_DEP_1)
	v_dual_fma_f32 v16, -v12, v10, v8 :: v_dual_cndmask_b32 v10, v10, v11, s2
	v_cmp_lt_f32_e64 s2, 0, v16
	s_delay_alu instid0(VALU_DEP_1) | instskip(NEXT) | instid1(VALU_DEP_1)
	v_cndmask_b32_e64 v10, v10, v12, s2
	v_mul_f32_e32 v11, 0x37800000, v10
	s_delay_alu instid0(VALU_DEP_1) | instskip(SKIP_1) | instid1(VALU_DEP_2)
	v_cndmask_b32_e32 v10, v10, v11, vcc_lo
	v_cmp_class_f32_e64 vcc_lo, v8, 0x260
	v_cndmask_b32_e32 v8, v10, v8, vcc_lo
	s_delay_alu instid0(VALU_DEP_1)
	v_mul_f32_e32 v10, v9, v8
.LBB29_68:
	s_or_b32 exec_lo, exec_lo, s6
                                        ; implicit-def: $vgpr8
                                        ; implicit-def: $vgpr9
.LBB29_69:
	s_and_not1_saveexec_b32 s5, s5
	s_cbranch_execz .LBB29_71
; %bb.70:
	v_div_scale_f32 v10, null, v8, v8, v9
	v_div_scale_f32 v13, vcc_lo, v9, v8, v9
	s_delay_alu instid0(VALU_DEP_2) | instskip(SKIP_1) | instid1(TRANS32_DEP_1)
	v_rcp_f32_e32 v11, v10
	v_nop
	v_fma_f32 v12, -v10, v11, 1.0
	s_delay_alu instid0(VALU_DEP_1) | instskip(NEXT) | instid1(VALU_DEP_1)
	v_fmac_f32_e32 v11, v12, v11
	v_mul_f32_e32 v12, v13, v11
	s_delay_alu instid0(VALU_DEP_1) | instskip(NEXT) | instid1(VALU_DEP_1)
	v_fma_f32 v16, -v10, v12, v13
	v_fmac_f32_e32 v12, v16, v11
	s_delay_alu instid0(VALU_DEP_1) | instskip(NEXT) | instid1(VALU_DEP_1)
	v_fma_f32 v10, -v10, v12, v13
	v_div_fmas_f32 v10, v10, v11, v12
	s_delay_alu instid0(VALU_DEP_1) | instskip(NEXT) | instid1(VALU_DEP_1)
	v_div_fixup_f32 v9, v10, v8, v9
	v_fma_f32 v9, v9, v9, 1.0
	s_delay_alu instid0(VALU_DEP_1) | instskip(SKIP_1) | instid1(VALU_DEP_2)
	v_mul_f32_e32 v10, 0x4f800000, v9
	v_cmp_gt_f32_e32 vcc_lo, 0xf800000, v9
	v_cndmask_b32_e32 v9, v9, v10, vcc_lo
	s_delay_alu instid0(VALU_DEP_1) | instskip(SKIP_1) | instid1(TRANS32_DEP_1)
	v_sqrt_f32_e32 v10, v9
	v_nop
	v_dual_add_nc_u32 v11, -1, v10 :: v_dual_add_nc_u32 v12, 1, v10
	s_delay_alu instid0(VALU_DEP_1) | instskip(NEXT) | instid1(VALU_DEP_1)
	v_fma_f32 v13, -v11, v10, v9
	v_cmp_ge_f32_e64 s2, 0, v13
	s_delay_alu instid0(VALU_DEP_1) | instskip(NEXT) | instid1(VALU_DEP_1)
	v_dual_fma_f32 v16, -v12, v10, v9 :: v_dual_cndmask_b32 v10, v10, v11, s2
	v_cmp_lt_f32_e64 s2, 0, v16
	s_delay_alu instid0(VALU_DEP_1) | instskip(NEXT) | instid1(VALU_DEP_1)
	v_cndmask_b32_e64 v10, v10, v12, s2
	v_mul_f32_e32 v11, 0x37800000, v10
	s_delay_alu instid0(VALU_DEP_1) | instskip(SKIP_1) | instid1(VALU_DEP_2)
	v_cndmask_b32_e32 v10, v10, v11, vcc_lo
	v_cmp_class_f32_e64 vcc_lo, v9, 0x260
	v_cndmask_b32_e32 v9, v10, v9, vcc_lo
	s_delay_alu instid0(VALU_DEP_1)
	v_mul_f32_e32 v10, v8, v9
.LBB29_71:
	s_or_b32 exec_lo, exec_lo, s5
	s_delay_alu instid0(VALU_DEP_1)
	v_cvt_f64_f32_e32 v[8:9], v10
	v_cmp_ne_u32_e32 vcc_lo, 1, v15
	v_cmp_eq_u32_e64 s2, 0, v14
	s_mov_b32 s5, -1
	s_cbranch_vccnz .LBB29_75
; %bb.72:
	v_cvt_f64_f32_e32 v[10:11], s29
	s_cmp_eq_u64 s[20:21], 8
	s_cselect_b32 vcc_lo, -1, 0
	s_delay_alu instid0(VALU_DEP_1) | instskip(NEXT) | instid1(VALU_DEP_1)
	v_dual_cndmask_b32 v3, v11, v3 :: v_dual_cndmask_b32 v2, v10, v2
	v_cmp_ge_f64_e32 vcc_lo, v[2:3], v[8:9]
	s_and_b32 s6, s2, vcc_lo
	s_delay_alu instid0(SALU_CYCLE_1)
	s_and_saveexec_b32 s5, s6
	s_cbranch_execz .LBB29_74
; %bb.73:
	v_lshl_add_u64 v[2:3], v[4:5], 3, s[8:9]
	v_dual_mov_b32 v4, s3 :: v_dual_mov_b32 v5, s22
	global_store_b64 v[2:3], v[4:5], off
	global_wb scope:SCOPE_DEV
	s_wait_storecnt 0x0
	global_inv scope:SCOPE_DEV
.LBB29_74:
	s_wait_xcnt 0x0
	s_or_b32 exec_lo, exec_lo, s5
	s_mov_b32 s5, 0
.LBB29_75:
	s_delay_alu instid0(SALU_CYCLE_1)
	s_and_not1_b32 vcc_lo, exec_lo, s5
	s_cbranch_vccnz .LBB29_86
; %bb.76:
	s_load_b64 s[0:1], s[0:1], 0x48
	v_add_nc_u32_e32 v2, s28, v0
	s_wait_kmcnt 0x0
	v_cmp_ge_f64_e32 vcc_lo, s[0:1], v[8:9]
	s_and_b32 s1, s2, vcc_lo
	s_delay_alu instid0(SALU_CYCLE_1)
	s_and_saveexec_b32 s0, s1
	s_cbranch_execz .LBB29_81
; %bb.77:
	s_mov_b32 s3, exec_lo
	s_brev_b32 s1, -2
.LBB29_78:                              ; =>This Inner Loop Header: Depth=1
	s_ctz_i32_b32 s5, s3
	s_delay_alu instid0(SALU_CYCLE_1) | instskip(SKIP_1) | instid1(SALU_CYCLE_1)
	v_readlane_b32 s6, v2, s5
	s_lshl_b32 s5, 1, s5
	s_and_not1_b32 s3, s3, s5
	s_min_i32 s1, s1, s6
	s_cmp_lg_u32 s3, 0
	s_cbranch_scc1 .LBB29_78
; %bb.79:
	v_mbcnt_lo_u32_b32 v3, exec_lo, 0
	s_mov_b32 s3, exec_lo
	s_delay_alu instid0(VALU_DEP_1)
	v_cmpx_eq_u32_e32 0, v3
	s_xor_b32 s3, exec_lo, s3
	s_cbranch_execz .LBB29_81
; %bb.80:
	v_dual_mov_b32 v3, 0 :: v_dual_mov_b32 v4, s1
	global_atomic_min_i32 v3, v4, s[18:19] scope:SCOPE_DEV
.LBB29_81:
	s_wait_xcnt 0x0
	s_or_b32 exec_lo, exec_lo, s0
	v_cmp_eq_f32_e32 vcc_lo, 0, v6
	v_cmp_eq_f32_e64 s0, 0, v7
	s_and_b32 s0, vcc_lo, s0
	s_delay_alu instid0(SALU_CYCLE_1) | instskip(NEXT) | instid1(SALU_CYCLE_1)
	s_and_b32 s0, s2, s0
	s_and_b32 exec_lo, exec_lo, s0
	s_cbranch_execz .LBB29_86
; %bb.82:
	s_mov_b32 s1, exec_lo
	s_brev_b32 s0, -2
.LBB29_83:                              ; =>This Inner Loop Header: Depth=1
	s_ctz_i32_b32 s2, s1
	s_delay_alu instid0(SALU_CYCLE_1) | instskip(SKIP_1) | instid1(SALU_CYCLE_1)
	v_readlane_b32 s3, v2, s2
	s_lshl_b32 s2, 1, s2
	s_and_not1_b32 s1, s1, s2
	s_min_i32 s0, s0, s3
	s_cmp_lg_u32 s1, 0
	s_cbranch_scc1 .LBB29_83
; %bb.84:
	v_mbcnt_lo_u32_b32 v2, exec_lo, 0
	s_mov_b32 s1, exec_lo
	s_delay_alu instid0(VALU_DEP_1)
	v_cmpx_eq_u32_e32 0, v2
	s_xor_b32 s1, exec_lo, s1
	s_cbranch_execz .LBB29_86
; %bb.85:
	v_dual_mov_b32 v2, 0 :: v_dual_mov_b32 v3, s0
	global_atomic_min_i32 v2, v3, s[16:17] scope:SCOPE_DEV
.LBB29_86:
	s_wait_xcnt 0x0
	s_or_b32 exec_lo, exec_lo, s4
	v_cmp_eq_u32_e32 vcc_lo, 0, v14
	global_wb scope:SCOPE_DEV
	s_wait_loadcnt 0x0
	s_wait_storecnt 0x0
	global_inv scope:SCOPE_DEV
	s_and_b32 exec_lo, exec_lo, vcc_lo
	s_cbranch_execz .LBB29_88
; %bb.87:
	v_lshl_add_u64 v[0:1], v[0:1], 2, s[12:13]
	v_mov_b32_e32 v2, 1
	global_wb scope:SCOPE_DEV
	s_wait_loadcnt 0x0
	s_wait_storecnt 0x0
	global_store_b32 v[0:1], v2, off scope:SCOPE_DEV
.LBB29_88:
	s_endpgm
	.section	.rodata,"a",@progbits
	.p2align	6, 0x0
	.amdhsa_kernel _ZN9rocsparseL12csrilu0_hashILj256ELj32ELj4E21rocsparse_complex_numIfEEEviPKiS4_PT2_S4_PiS4_S7_S7_d21rocsparse_index_base_imNS_24const_host_device_scalarIfEENS9_IdEENS9_IS5_EEb
		.amdhsa_group_segment_fixed_size 8192
		.amdhsa_private_segment_fixed_size 0
		.amdhsa_kernarg_size 124
		.amdhsa_user_sgpr_count 2
		.amdhsa_user_sgpr_dispatch_ptr 0
		.amdhsa_user_sgpr_queue_ptr 0
		.amdhsa_user_sgpr_kernarg_segment_ptr 1
		.amdhsa_user_sgpr_dispatch_id 0
		.amdhsa_user_sgpr_kernarg_preload_length 0
		.amdhsa_user_sgpr_kernarg_preload_offset 0
		.amdhsa_user_sgpr_private_segment_size 0
		.amdhsa_wavefront_size32 1
		.amdhsa_uses_dynamic_stack 0
		.amdhsa_enable_private_segment 0
		.amdhsa_system_sgpr_workgroup_id_x 1
		.amdhsa_system_sgpr_workgroup_id_y 0
		.amdhsa_system_sgpr_workgroup_id_z 0
		.amdhsa_system_sgpr_workgroup_info 0
		.amdhsa_system_vgpr_workitem_id 0
		.amdhsa_next_free_vgpr 25
		.amdhsa_next_free_sgpr 42
		.amdhsa_named_barrier_count 0
		.amdhsa_reserve_vcc 1
		.amdhsa_float_round_mode_32 0
		.amdhsa_float_round_mode_16_64 0
		.amdhsa_float_denorm_mode_32 3
		.amdhsa_float_denorm_mode_16_64 3
		.amdhsa_fp16_overflow 0
		.amdhsa_memory_ordered 1
		.amdhsa_forward_progress 1
		.amdhsa_inst_pref_size 28
		.amdhsa_round_robin_scheduling 0
		.amdhsa_exception_fp_ieee_invalid_op 0
		.amdhsa_exception_fp_denorm_src 0
		.amdhsa_exception_fp_ieee_div_zero 0
		.amdhsa_exception_fp_ieee_overflow 0
		.amdhsa_exception_fp_ieee_underflow 0
		.amdhsa_exception_fp_ieee_inexact 0
		.amdhsa_exception_int_div_zero 0
	.end_amdhsa_kernel
	.section	.text._ZN9rocsparseL12csrilu0_hashILj256ELj32ELj4E21rocsparse_complex_numIfEEEviPKiS4_PT2_S4_PiS4_S7_S7_d21rocsparse_index_base_imNS_24const_host_device_scalarIfEENS9_IdEENS9_IS5_EEb,"axG",@progbits,_ZN9rocsparseL12csrilu0_hashILj256ELj32ELj4E21rocsparse_complex_numIfEEEviPKiS4_PT2_S4_PiS4_S7_S7_d21rocsparse_index_base_imNS_24const_host_device_scalarIfEENS9_IdEENS9_IS5_EEb,comdat
.Lfunc_end29:
	.size	_ZN9rocsparseL12csrilu0_hashILj256ELj32ELj4E21rocsparse_complex_numIfEEEviPKiS4_PT2_S4_PiS4_S7_S7_d21rocsparse_index_base_imNS_24const_host_device_scalarIfEENS9_IdEENS9_IS5_EEb, .Lfunc_end29-_ZN9rocsparseL12csrilu0_hashILj256ELj32ELj4E21rocsparse_complex_numIfEEEviPKiS4_PT2_S4_PiS4_S7_S7_d21rocsparse_index_base_imNS_24const_host_device_scalarIfEENS9_IdEENS9_IS5_EEb
                                        ; -- End function
	.set _ZN9rocsparseL12csrilu0_hashILj256ELj32ELj4E21rocsparse_complex_numIfEEEviPKiS4_PT2_S4_PiS4_S7_S7_d21rocsparse_index_base_imNS_24const_host_device_scalarIfEENS9_IdEENS9_IS5_EEb.num_vgpr, 25
	.set _ZN9rocsparseL12csrilu0_hashILj256ELj32ELj4E21rocsparse_complex_numIfEEEviPKiS4_PT2_S4_PiS4_S7_S7_d21rocsparse_index_base_imNS_24const_host_device_scalarIfEENS9_IdEENS9_IS5_EEb.num_agpr, 0
	.set _ZN9rocsparseL12csrilu0_hashILj256ELj32ELj4E21rocsparse_complex_numIfEEEviPKiS4_PT2_S4_PiS4_S7_S7_d21rocsparse_index_base_imNS_24const_host_device_scalarIfEENS9_IdEENS9_IS5_EEb.numbered_sgpr, 42
	.set _ZN9rocsparseL12csrilu0_hashILj256ELj32ELj4E21rocsparse_complex_numIfEEEviPKiS4_PT2_S4_PiS4_S7_S7_d21rocsparse_index_base_imNS_24const_host_device_scalarIfEENS9_IdEENS9_IS5_EEb.num_named_barrier, 0
	.set _ZN9rocsparseL12csrilu0_hashILj256ELj32ELj4E21rocsparse_complex_numIfEEEviPKiS4_PT2_S4_PiS4_S7_S7_d21rocsparse_index_base_imNS_24const_host_device_scalarIfEENS9_IdEENS9_IS5_EEb.private_seg_size, 0
	.set _ZN9rocsparseL12csrilu0_hashILj256ELj32ELj4E21rocsparse_complex_numIfEEEviPKiS4_PT2_S4_PiS4_S7_S7_d21rocsparse_index_base_imNS_24const_host_device_scalarIfEENS9_IdEENS9_IS5_EEb.uses_vcc, 1
	.set _ZN9rocsparseL12csrilu0_hashILj256ELj32ELj4E21rocsparse_complex_numIfEEEviPKiS4_PT2_S4_PiS4_S7_S7_d21rocsparse_index_base_imNS_24const_host_device_scalarIfEENS9_IdEENS9_IS5_EEb.uses_flat_scratch, 0
	.set _ZN9rocsparseL12csrilu0_hashILj256ELj32ELj4E21rocsparse_complex_numIfEEEviPKiS4_PT2_S4_PiS4_S7_S7_d21rocsparse_index_base_imNS_24const_host_device_scalarIfEENS9_IdEENS9_IS5_EEb.has_dyn_sized_stack, 0
	.set _ZN9rocsparseL12csrilu0_hashILj256ELj32ELj4E21rocsparse_complex_numIfEEEviPKiS4_PT2_S4_PiS4_S7_S7_d21rocsparse_index_base_imNS_24const_host_device_scalarIfEENS9_IdEENS9_IS5_EEb.has_recursion, 0
	.set _ZN9rocsparseL12csrilu0_hashILj256ELj32ELj4E21rocsparse_complex_numIfEEEviPKiS4_PT2_S4_PiS4_S7_S7_d21rocsparse_index_base_imNS_24const_host_device_scalarIfEENS9_IdEENS9_IS5_EEb.has_indirect_call, 0
	.section	.AMDGPU.csdata,"",@progbits
; Kernel info:
; codeLenInByte = 3524
; TotalNumSgprs: 44
; NumVgprs: 25
; ScratchSize: 0
; MemoryBound: 0
; FloatMode: 240
; IeeeMode: 1
; LDSByteSize: 8192 bytes/workgroup (compile time only)
; SGPRBlocks: 0
; VGPRBlocks: 1
; NumSGPRsForWavesPerEU: 44
; NumVGPRsForWavesPerEU: 25
; NamedBarCnt: 0
; Occupancy: 16
; WaveLimiterHint : 1
; COMPUTE_PGM_RSRC2:SCRATCH_EN: 0
; COMPUTE_PGM_RSRC2:USER_SGPR: 2
; COMPUTE_PGM_RSRC2:TRAP_HANDLER: 0
; COMPUTE_PGM_RSRC2:TGID_X_EN: 1
; COMPUTE_PGM_RSRC2:TGID_Y_EN: 0
; COMPUTE_PGM_RSRC2:TGID_Z_EN: 0
; COMPUTE_PGM_RSRC2:TIDIG_COMP_CNT: 0
	.section	.text._ZN9rocsparseL12csrilu0_hashILj256ELj32ELj8E21rocsparse_complex_numIfEEEviPKiS4_PT2_S4_PiS4_S7_S7_d21rocsparse_index_base_imNS_24const_host_device_scalarIfEENS9_IdEENS9_IS5_EEb,"axG",@progbits,_ZN9rocsparseL12csrilu0_hashILj256ELj32ELj8E21rocsparse_complex_numIfEEEviPKiS4_PT2_S4_PiS4_S7_S7_d21rocsparse_index_base_imNS_24const_host_device_scalarIfEENS9_IdEENS9_IS5_EEb,comdat
	.globl	_ZN9rocsparseL12csrilu0_hashILj256ELj32ELj8E21rocsparse_complex_numIfEEEviPKiS4_PT2_S4_PiS4_S7_S7_d21rocsparse_index_base_imNS_24const_host_device_scalarIfEENS9_IdEENS9_IS5_EEb ; -- Begin function _ZN9rocsparseL12csrilu0_hashILj256ELj32ELj8E21rocsparse_complex_numIfEEEviPKiS4_PT2_S4_PiS4_S7_S7_d21rocsparse_index_base_imNS_24const_host_device_scalarIfEENS9_IdEENS9_IS5_EEb
	.p2align	8
	.type	_ZN9rocsparseL12csrilu0_hashILj256ELj32ELj8E21rocsparse_complex_numIfEEEviPKiS4_PT2_S4_PiS4_S7_S7_d21rocsparse_index_base_imNS_24const_host_device_scalarIfEENS9_IdEENS9_IS5_EEb,@function
_ZN9rocsparseL12csrilu0_hashILj256ELj32ELj8E21rocsparse_complex_numIfEEEviPKiS4_PT2_S4_PiS4_S7_S7_d21rocsparse_index_base_imNS_24const_host_device_scalarIfEENS9_IdEENS9_IS5_EEb: ; @_ZN9rocsparseL12csrilu0_hashILj256ELj32ELj8E21rocsparse_complex_numIfEEEviPKiS4_PT2_S4_PiS4_S7_S7_d21rocsparse_index_base_imNS_24const_host_device_scalarIfEENS9_IdEENS9_IS5_EEb
; %bb.0:
	s_clause 0x2
	s_load_b32 s2, s[0:1], 0x78
	s_load_b64 s[28:29], s[0:1], 0x50
	s_load_b256 s[20:27], s[0:1], 0x58
	s_wait_kmcnt 0x0
	s_bitcmp1_b32 s2, 0
	s_cselect_b32 s4, -1, 0
	s_cmp_eq_u32 s29, 0
	s_cselect_b32 s2, -1, 0
	s_cmp_lg_u32 s29, 0
	s_cselect_b32 s5, -1, 0
	s_or_b32 s7, s2, s4
	s_delay_alu instid0(SALU_CYCLE_1)
	s_xor_b32 s6, s7, -1
	s_and_b32 s2, s2, exec_lo
	s_cselect_b32 s3, 0, s25
	s_cselect_b32 s2, 0, s24
	;; [unrolled: 1-line block ×3, first 2 shown]
	s_and_b32 vcc_lo, exec_lo, s7
	s_cbranch_vccnz .LBB30_2
; %bb.1:
	s_load_b32 s29, s[22:23], 0x0
	s_mov_b64 s[2:3], s[24:25]
.LBB30_2:
	s_delay_alu instid0(SALU_CYCLE_1)
	v_mov_b64_e32 v[2:3], s[2:3]
	s_and_not1_b32 vcc_lo, exec_lo, s6
	s_cbranch_vccnz .LBB30_4
; %bb.3:
	v_mov_b32_e32 v1, 0
	flat_load_b64 v[2:3], v1, s[24:25]
.LBB30_4:
	v_cndmask_b32_e64 v15, 0, 1, s5
	s_mov_b32 s3, 0
	s_and_not1_b32 vcc_lo, exec_lo, s5
	s_wait_xcnt 0x0
	s_mov_b32 s22, 0
	s_cbranch_vccnz .LBB30_10
; %bb.5:
	s_xor_b32 s2, s4, -1
	s_mov_b32 s3, s26
	v_cndmask_b32_e64 v1, 0, 1, s2
	s_and_not1_b32 vcc_lo, exec_lo, s2
	s_cbranch_vccnz .LBB30_7
; %bb.6:
	s_load_b32 s3, s[26:27], 0x0
.LBB30_7:
	s_delay_alu instid0(VALU_DEP_1)
	v_cmp_ne_u32_e32 vcc_lo, 1, v1
	s_cbranch_vccnz .LBB30_9
; %bb.8:
	s_wait_xcnt 0x0
	s_load_b32 s27, s[26:27], 0x4
.LBB30_9:
	s_wait_kmcnt 0x0
	s_mov_b32 s22, s27
.LBB30_10:
	s_load_b32 s2, s[0:1], 0x0
	s_bfe_u32 s4, ttmp6, 0x4000c
	v_dual_lshlrev_b32 v1, 3, v0 :: v_dual_bitop2_b32 v14, 31, v0 bitop3:0x40
	s_add_co_i32 s4, s4, 1
	s_and_b32 s5, ttmp6, 15
	s_mul_i32 s4, ttmp9, s4
	s_getreg_b32 s6, hwreg(HW_REG_IB_STS2, 6, 4)
	s_add_co_i32 s5, s5, s4
	s_cmp_eq_u32 s6, 0
	v_and_b32_e32 v9, 0x700, v1
	v_dual_lshrrev_b32 v0, 5, v0 :: v_dual_mov_b32 v4, -1
	s_cselect_b32 s4, ttmp9, s5
	s_delay_alu instid0(SALU_CYCLE_1) | instskip(NEXT) | instid1(VALU_DEP_2)
	s_lshl_b32 s4, s4, 3
	v_lshl_or_b32 v5, v9, 2, 0x2000
	s_delay_alu instid0(VALU_DEP_2) | instskip(NEXT) | instid1(VALU_DEP_2)
	v_and_or_b32 v0, 0x7fffff8, s4, v0
	v_lshl_or_b32 v1, v14, 2, v5
	s_wait_kmcnt 0x0
	s_delay_alu instid0(VALU_DEP_2)
	v_cmp_gt_i32_e32 vcc_lo, s2, v0
	ds_store_2addr_b32 v1, v4, v4 offset1:32
	ds_store_2addr_b32 v1, v4, v4 offset0:64 offset1:96
	ds_store_2addr_b32 v1, v4, v4 offset0:128 offset1:160
	;; [unrolled: 1-line block ×3, first 2 shown]
	s_wait_loadcnt_dscnt 0x0
	s_and_saveexec_b32 s2, vcc_lo
	s_cbranch_execz .LBB30_88
; %bb.11:
	s_load_b512 s[4:19], s[0:1], 0x8
	v_lshlrev_b32_e32 v16, 2, v9
	s_mov_b32 s2, exec_lo
	s_wait_kmcnt 0x0
	global_load_b32 v0, v0, s[14:15] scale_offset
	s_wait_loadcnt 0x0
	v_ashrrev_i32_e32 v1, 31, v0
	s_delay_alu instid0(VALU_DEP_1)
	v_lshl_add_u64 v[6:7], v[0:1], 2, s[4:5]
	global_load_b64 v[10:11], v[6:7], off
	global_load_b32 v4, v0, s[10:11] scale_offset
	s_wait_loadcnt 0x1
	s_wait_xcnt 0x1
	v_subrev_nc_u32_e32 v6, s28, v10
	v_subrev_nc_u32_e32 v7, s28, v11
	s_delay_alu instid0(VALU_DEP_2) | instskip(SKIP_1) | instid1(VALU_DEP_1)
	v_add_nc_u32_e32 v8, v6, v14
	s_wait_xcnt 0x0
	v_cmpx_lt_i32_e64 v8, v7
	s_cbranch_execz .LBB30_34
; %bb.12:
	v_mov_b32_e32 v9, -1
	s_mov_b32 s14, 0
	s_branch .LBB30_14
.LBB30_13:                              ;   in Loop: Header=BB30_14 Depth=1
	s_or_b32 exec_lo, exec_lo, s15
	v_add_nc_u32_e32 v8, 32, v8
	s_delay_alu instid0(VALU_DEP_1) | instskip(SKIP_1) | instid1(SALU_CYCLE_1)
	v_cmp_ge_i32_e32 vcc_lo, v8, v7
	s_or_b32 s14, vcc_lo, s14
	s_and_not1_b32 exec_lo, exec_lo, s14
	s_cbranch_execz .LBB30_34
.LBB30_14:                              ; =>This Loop Header: Depth=1
                                        ;     Child Loop BB30_23 Depth 2
	global_load_b32 v10, v8, s[6:7] scale_offset
	v_mov_b32_e32 v11, 0x100
	s_mov_b32 s15, 0
                                        ; implicit-def: $sgpr23
                                        ; implicit-def: $sgpr24
                                        ; implicit-def: $sgpr25
	s_wait_loadcnt 0x0
	v_mul_lo_u32 v13, 0x67, v10
	s_branch .LBB30_23
.LBB30_15:                              ;   in Loop: Header=BB30_23 Depth=2
	s_or_b32 exec_lo, exec_lo, s38
	s_delay_alu instid0(SALU_CYCLE_1)
	s_or_not1_b32 s36, s36, exec_lo
	s_or_not1_b32 s37, s37, exec_lo
.LBB30_16:                              ;   in Loop: Header=BB30_23 Depth=2
	s_or_b32 exec_lo, exec_lo, s35
	s_delay_alu instid0(SALU_CYCLE_1)
	s_and_b32 s36, s36, exec_lo
	s_or_not1_b32 s35, s37, exec_lo
.LBB30_17:                              ;   in Loop: Header=BB30_23 Depth=2
	s_or_b32 exec_lo, exec_lo, s34
	s_delay_alu instid0(SALU_CYCLE_1)
	s_or_not1_b32 s34, s36, exec_lo
	s_or_not1_b32 s35, s35, exec_lo
.LBB30_18:                              ;   in Loop: Header=BB30_23 Depth=2
	s_or_b32 exec_lo, exec_lo, s33
	s_delay_alu instid0(SALU_CYCLE_1)
	s_and_b32 s34, s34, exec_lo
	s_or_not1_b32 s33, s35, exec_lo
.LBB30_19:                              ;   in Loop: Header=BB30_23 Depth=2
	s_or_b32 exec_lo, exec_lo, s31
	s_delay_alu instid0(SALU_CYCLE_1)
	s_or_not1_b32 s31, s34, exec_lo
	s_or_not1_b32 s33, s33, exec_lo
.LBB30_20:                              ;   in Loop: Header=BB30_23 Depth=2
	s_or_b32 exec_lo, exec_lo, s30
	s_delay_alu instid0(SALU_CYCLE_1)
	s_and_b32 s31, s31, exec_lo
	s_or_not1_b32 s30, s33, exec_lo
.LBB30_21:                              ;   in Loop: Header=BB30_23 Depth=2
	s_or_b32 exec_lo, exec_lo, s27
	s_delay_alu instid0(SALU_CYCLE_1)
	s_and_not1_b32 s25, s25, exec_lo
	s_and_b32 s27, s31, exec_lo
	s_and_not1_b32 s24, s24, exec_lo
	s_and_b32 s30, s30, exec_lo
	s_or_b32 s25, s25, s27
	s_or_b32 s24, s24, s30
.LBB30_22:                              ;   in Loop: Header=BB30_23 Depth=2
	s_or_b32 exec_lo, exec_lo, s26
	s_delay_alu instid0(SALU_CYCLE_1) | instskip(NEXT) | instid1(SALU_CYCLE_1)
	s_and_b32 s26, exec_lo, s24
	s_or_b32 s15, s26, s15
	s_and_not1_b32 s23, s23, exec_lo
	s_and_b32 s26, s25, exec_lo
	s_delay_alu instid0(SALU_CYCLE_1)
	s_or_b32 s23, s23, s26
	s_and_not1_b32 exec_lo, exec_lo, s15
	s_cbranch_execz .LBB30_32
.LBB30_23:                              ;   Parent Loop BB30_14 Depth=1
                                        ; =>  This Inner Loop Header: Depth=2
	s_delay_alu instid0(VALU_DEP_1) | instskip(SKIP_3) | instid1(VALU_DEP_1)
	v_and_b32_e32 v12, 0xff, v13
	s_or_b32 s25, s25, exec_lo
	s_or_b32 s24, s24, exec_lo
	s_mov_b32 s26, exec_lo
	v_lshl_add_u32 v17, v12, 2, v5
	ds_load_b32 v18, v17
	s_wait_dscnt 0x0
	s_wait_xcnt 0x0
	v_cmpx_ne_u32_e64 v18, v10
	s_cbranch_execz .LBB30_22
; %bb.24:                               ;   in Loop: Header=BB30_23 Depth=2
	ds_cmpstore_rtn_b32 v17, v17, v10, v9
	s_mov_b32 s30, -1
	s_mov_b32 s31, 0
	s_mov_b32 s27, exec_lo
	s_wait_dscnt 0x0
	v_cmpx_ne_u32_e32 -1, v17
	s_cbranch_execz .LBB30_21
; %bb.25:                               ;   in Loop: Header=BB30_23 Depth=2
	v_add_nc_u32_e32 v12, 1, v13
	s_mov_b32 s33, -1
	s_mov_b32 s31, -1
	s_mov_b32 s30, exec_lo
	s_delay_alu instid0(VALU_DEP_1) | instskip(NEXT) | instid1(VALU_DEP_1)
	v_and_b32_e32 v12, 0xff, v12
	v_lshl_add_u32 v17, v12, 2, v5
	ds_load_b32 v18, v17
	s_wait_dscnt 0x0
	v_cmpx_ne_u32_e64 v18, v10
	s_cbranch_execz .LBB30_20
; %bb.26:                               ;   in Loop: Header=BB30_23 Depth=2
	ds_cmpstore_rtn_b32 v17, v17, v10, v9
	s_mov_b32 s34, 0
	s_mov_b32 s31, exec_lo
	s_wait_dscnt 0x0
	v_cmpx_ne_u32_e32 -1, v17
	s_cbranch_execz .LBB30_19
; %bb.27:                               ;   in Loop: Header=BB30_23 Depth=2
	v_add_nc_u32_e32 v12, 2, v13
	s_mov_b32 s35, -1
	s_mov_b32 s34, -1
	s_mov_b32 s33, exec_lo
	s_delay_alu instid0(VALU_DEP_1) | instskip(NEXT) | instid1(VALU_DEP_1)
	v_and_b32_e32 v12, 0xff, v12
	v_lshl_add_u32 v17, v12, 2, v5
	ds_load_b32 v18, v17
	s_wait_dscnt 0x0
	v_cmpx_ne_u32_e64 v18, v10
	s_cbranch_execz .LBB30_18
; %bb.28:                               ;   in Loop: Header=BB30_23 Depth=2
	ds_cmpstore_rtn_b32 v17, v17, v10, v9
	s_mov_b32 s36, 0
	s_mov_b32 s34, exec_lo
	s_wait_dscnt 0x0
	v_cmpx_ne_u32_e32 -1, v17
	s_cbranch_execz .LBB30_17
; %bb.29:                               ;   in Loop: Header=BB30_23 Depth=2
	v_add_nc_u32_e32 v12, 3, v13
	s_mov_b32 s37, -1
	s_mov_b32 s36, -1
	s_delay_alu instid0(VALU_DEP_1) | instskip(NEXT) | instid1(VALU_DEP_1)
	v_and_b32_e32 v12, 0xff, v12
	v_lshl_add_u32 v17, v12, 2, v5
	ds_load_b32 v13, v17
	s_wait_dscnt 0x0
	v_cmp_ne_u32_e32 vcc_lo, v13, v10
                                        ; implicit-def: $vgpr13
	s_and_saveexec_b32 s35, vcc_lo
	s_cbranch_execz .LBB30_16
; %bb.30:                               ;   in Loop: Header=BB30_23 Depth=2
	ds_cmpstore_rtn_b32 v13, v17, v10, v9
	s_mov_b32 s36, 0
	s_wait_dscnt 0x0
	v_cmp_ne_u32_e32 vcc_lo, -1, v13
                                        ; implicit-def: $vgpr13
	s_and_saveexec_b32 s38, vcc_lo
	s_cbranch_execz .LBB30_15
; %bb.31:                               ;   in Loop: Header=BB30_23 Depth=2
	v_dual_add_nc_u32 v11, -4, v11 :: v_dual_add_nc_u32 v13, 1, v12
	s_mov_b32 s36, exec_lo
	s_delay_alu instid0(VALU_DEP_1)
	v_cmp_eq_u32_e32 vcc_lo, 0, v11
	s_or_not1_b32 s37, vcc_lo, exec_lo
	s_branch .LBB30_15
.LBB30_32:                              ;   in Loop: Header=BB30_14 Depth=1
	s_or_b32 exec_lo, exec_lo, s15
	s_xor_b32 s15, s23, -1
	s_delay_alu instid0(SALU_CYCLE_1) | instskip(NEXT) | instid1(SALU_CYCLE_1)
	s_and_saveexec_b32 s23, s15
	s_xor_b32 s15, exec_lo, s23
	s_cbranch_execz .LBB30_13
; %bb.33:                               ;   in Loop: Header=BB30_14 Depth=1
	v_lshl_add_u32 v10, v12, 2, v16
	ds_store_b32 v10, v8
	s_branch .LBB30_13
.LBB30_34:
	s_or_b32 exec_lo, exec_lo, s2
	s_delay_alu instid0(SALU_CYCLE_1)
	s_mov_b32 s14, exec_lo
	s_wait_loadcnt_dscnt 0x0
	v_cmpx_lt_i32_e64 v6, v4
	s_cbranch_execz .LBB30_64
; %bb.35:
	v_add_nc_u32_e32 v17, 1, v14
	s_mov_b32 s15, 0
	s_branch .LBB30_38
.LBB30_36:                              ;   in Loop: Header=BB30_38 Depth=1
	s_or_b32 exec_lo, exec_lo, s23
	v_add_nc_u32_e32 v6, 1, v6
	s_delay_alu instid0(VALU_DEP_1)
	v_cmp_ge_i32_e32 vcc_lo, v6, v4
	s_or_not1_b32 s23, vcc_lo, exec_lo
.LBB30_37:                              ;   in Loop: Header=BB30_38 Depth=1
	s_or_b32 exec_lo, exec_lo, s2
	s_delay_alu instid0(SALU_CYCLE_1) | instskip(NEXT) | instid1(SALU_CYCLE_1)
	s_and_b32 s2, exec_lo, s23
	s_or_b32 s15, s2, s15
	s_delay_alu instid0(SALU_CYCLE_1)
	s_and_not1_b32 exec_lo, exec_lo, s15
	s_cbranch_execz .LBB30_64
.LBB30_38:                              ; =>This Loop Header: Depth=1
                                        ;     Child Loop BB30_39 Depth 2
                                        ;     Child Loop BB30_44 Depth 2
                                        ;       Child Loop BB30_53 Depth 3
	s_clause 0x1
	global_load_b32 v7, v6, s[6:7] scale_offset
	global_load_b64 v[8:9], v6, s[8:9] scale_offset
	s_mov_b32 s2, 0
	s_wait_loadcnt 0x1
	v_subrev_nc_u32_e32 v10, s28, v7
	v_ashrrev_i32_e32 v7, 31, v6
	s_clause 0x1
	global_load_b32 v19, v10, s[4:5] offset:4 scale_offset
	global_load_b32 v18, v10, s[10:11] scale_offset
	v_ashrrev_i32_e32 v11, 31, v10
	v_lshl_add_u64 v[12:13], v[6:7], 3, s[8:9]
	s_wait_xcnt 0x0
	s_delay_alu instid0(VALU_DEP_2)
	v_lshl_add_u64 v[10:11], v[10:11], 2, s[12:13]
.LBB30_39:                              ;   Parent Loop BB30_38 Depth=1
                                        ; =>  This Inner Loop Header: Depth=2
	global_load_b32 v7, v[10:11], off scope:SCOPE_DEV
	s_wait_loadcnt 0x0
	v_cmp_ne_u32_e32 vcc_lo, 0, v7
	s_or_b32 s2, vcc_lo, s2
	s_wait_xcnt 0x0
	s_and_not1_b32 exec_lo, exec_lo, s2
	s_cbranch_execnz .LBB30_39
; %bb.40:                               ;   in Loop: Header=BB30_38 Depth=1
	s_or_b32 exec_lo, exec_lo, s2
	v_subrev_nc_u32_e32 v7, s28, v19
	v_cmp_eq_u32_e32 vcc_lo, -1, v18
	global_inv scope:SCOPE_DEV
	s_mov_b32 s23, -1
	v_add_nc_u32_e32 v10, -1, v7
	s_delay_alu instid0(VALU_DEP_1)
	v_cndmask_b32_e32 v18, v18, v10, vcc_lo
	global_load_b64 v[10:11], v18, s[8:9] scale_offset
	s_wait_loadcnt 0x0
	v_cmp_neq_f32_e32 vcc_lo, 0, v10
	v_cmp_neq_f32_e64 s2, 0, v11
	s_or_b32 s24, vcc_lo, s2
	s_wait_xcnt 0x0
	s_and_saveexec_b32 s2, s24
	s_cbranch_execz .LBB30_37
; %bb.41:                               ;   in Loop: Header=BB30_38 Depth=1
	v_mul_f32_e32 v19, v11, v11
	s_mov_b32 s23, exec_lo
	s_delay_alu instid0(VALU_DEP_1) | instskip(NEXT) | instid1(VALU_DEP_1)
	v_fmac_f32_e32 v19, v10, v10
	v_div_scale_f32 v20, null, v19, v19, 1.0
	v_div_scale_f32 v23, vcc_lo, 1.0, v19, 1.0
	s_delay_alu instid0(VALU_DEP_2) | instskip(SKIP_1) | instid1(TRANS32_DEP_1)
	v_rcp_f32_e32 v21, v20
	v_nop
	v_fma_f32 v22, -v20, v21, 1.0
	s_delay_alu instid0(VALU_DEP_1) | instskip(NEXT) | instid1(VALU_DEP_1)
	v_fmac_f32_e32 v21, v22, v21
	v_mul_f32_e32 v22, v23, v21
	s_delay_alu instid0(VALU_DEP_1) | instskip(NEXT) | instid1(VALU_DEP_1)
	v_fma_f32 v24, -v20, v22, v23
	v_fmac_f32_e32 v22, v24, v21
	s_delay_alu instid0(VALU_DEP_1) | instskip(NEXT) | instid1(VALU_DEP_1)
	v_dual_fma_f32 v23, -v20, v22, v23 :: v_dual_mov_b32 v20, v11
	v_div_fmas_f32 v11, v23, v21, v22
	s_delay_alu instid0(VALU_DEP_2) | instskip(NEXT) | instid1(VALU_DEP_2)
	v_pk_mul_f32 v[20:21], v[8:9], v[20:21] op_sel:[1,0] op_sel_hi:[0,0] neg_hi:[1,0]
	v_div_fixup_f32 v22, v11, v19, 1.0
	s_delay_alu instid0(VALU_DEP_2) | instskip(SKIP_1) | instid1(VALU_DEP_2)
	v_pk_fma_f32 v[10:11], v[8:9], v[10:11], v[20:21] op_sel_hi:[1,0,1]
	v_add_nc_u32_e32 v8, v17, v18
	v_pk_mul_f32 v[10:11], v[10:11], v[22:23] op_sel_hi:[1,0]
	global_store_b64 v[12:13], v[10:11], off
	s_wait_xcnt 0x0
	v_cmpx_lt_i32_e64 v8, v7
	s_cbranch_execz .LBB30_36
; %bb.42:                               ;   in Loop: Header=BB30_38 Depth=1
	v_xor_b32_e32 v13, 0x80000000, v10
	v_mov_b32_e32 v12, v11
	s_mov_b32 s24, 0
	s_branch .LBB30_44
.LBB30_43:                              ;   in Loop: Header=BB30_44 Depth=2
	s_wait_xcnt 0x0
	s_or_b32 exec_lo, exec_lo, s25
	v_add_nc_u32_e32 v8, 32, v8
	s_delay_alu instid0(VALU_DEP_1) | instskip(SKIP_1) | instid1(SALU_CYCLE_1)
	v_cmp_ge_i32_e32 vcc_lo, v8, v7
	s_or_b32 s24, vcc_lo, s24
	s_and_not1_b32 exec_lo, exec_lo, s24
	s_cbranch_execz .LBB30_36
.LBB30_44:                              ;   Parent Loop BB30_38 Depth=1
                                        ; =>  This Loop Header: Depth=2
                                        ;       Child Loop BB30_53 Depth 3
	global_load_b32 v18, v8, s[6:7] scale_offset
	v_ashrrev_i32_e32 v9, 31, v8
	v_mov_b32_e32 v19, 0x100
	s_mov_b32 s25, 0
                                        ; implicit-def: $sgpr26
                                        ; implicit-def: $sgpr27
                                        ; implicit-def: $sgpr30
	s_wait_loadcnt 0x0
	v_mul_lo_u32 v21, 0x67, v18
	s_branch .LBB30_53
.LBB30_45:                              ;   in Loop: Header=BB30_53 Depth=3
	s_or_b32 exec_lo, exec_lo, s41
	s_delay_alu instid0(SALU_CYCLE_1)
	s_or_not1_b32 s39, s39, exec_lo
	s_or_not1_b32 s40, s40, exec_lo
.LBB30_46:                              ;   in Loop: Header=BB30_53 Depth=3
	s_or_b32 exec_lo, exec_lo, s38
	s_delay_alu instid0(SALU_CYCLE_1)
	s_and_b32 s39, s39, exec_lo
	s_or_not1_b32 s38, s40, exec_lo
.LBB30_47:                              ;   in Loop: Header=BB30_53 Depth=3
	s_or_b32 exec_lo, exec_lo, s37
	s_delay_alu instid0(SALU_CYCLE_1)
	s_or_not1_b32 s37, s39, exec_lo
	s_or_not1_b32 s38, s38, exec_lo
.LBB30_48:                              ;   in Loop: Header=BB30_53 Depth=3
	s_or_b32 exec_lo, exec_lo, s36
	s_delay_alu instid0(SALU_CYCLE_1)
	s_and_b32 s37, s37, exec_lo
	s_or_not1_b32 s36, s38, exec_lo
.LBB30_49:                              ;   in Loop: Header=BB30_53 Depth=3
	s_or_b32 exec_lo, exec_lo, s35
	s_delay_alu instid0(SALU_CYCLE_1)
	s_or_not1_b32 s35, s37, exec_lo
	s_or_not1_b32 s36, s36, exec_lo
.LBB30_50:                              ;   in Loop: Header=BB30_53 Depth=3
	s_or_b32 exec_lo, exec_lo, s34
	s_delay_alu instid0(SALU_CYCLE_1)
	s_and_b32 s35, s35, exec_lo
	s_or_not1_b32 s34, s36, exec_lo
.LBB30_51:                              ;   in Loop: Header=BB30_53 Depth=3
	s_or_b32 exec_lo, exec_lo, s33
	s_delay_alu instid0(SALU_CYCLE_1)
	s_and_not1_b32 s30, s30, exec_lo
	s_and_b32 s33, s35, exec_lo
	s_and_not1_b32 s27, s27, exec_lo
	s_and_b32 s34, s34, exec_lo
	s_or_b32 s30, s30, s33
	s_or_b32 s27, s27, s34
.LBB30_52:                              ;   in Loop: Header=BB30_53 Depth=3
	s_or_b32 exec_lo, exec_lo, s31
	s_delay_alu instid0(SALU_CYCLE_1) | instskip(NEXT) | instid1(SALU_CYCLE_1)
	s_and_b32 s31, exec_lo, s27
	s_or_b32 s25, s31, s25
	s_and_not1_b32 s26, s26, exec_lo
	s_and_b32 s31, s30, exec_lo
	s_delay_alu instid0(SALU_CYCLE_1)
	s_or_b32 s26, s26, s31
	s_and_not1_b32 exec_lo, exec_lo, s25
	s_cbranch_execz .LBB30_62
.LBB30_53:                              ;   Parent Loop BB30_38 Depth=1
                                        ;     Parent Loop BB30_44 Depth=2
                                        ; =>    This Inner Loop Header: Depth=3
	s_delay_alu instid0(VALU_DEP_1) | instskip(SKIP_3) | instid1(VALU_DEP_1)
	v_and_b32_e32 v20, 0xff, v21
	s_or_b32 s30, s30, exec_lo
	s_or_b32 s27, s27, exec_lo
	s_mov_b32 s31, exec_lo
	v_lshl_add_u32 v22, v20, 2, v5
	ds_load_b32 v22, v22
	s_wait_dscnt 0x0
	s_wait_xcnt 0x0
	v_cmpx_ne_u32_e32 -1, v22
	s_cbranch_execz .LBB30_52
; %bb.54:                               ;   in Loop: Header=BB30_53 Depth=3
	s_mov_b32 s34, -1
	s_mov_b32 s35, 0
	s_mov_b32 s33, exec_lo
	v_cmpx_ne_u32_e64 v22, v18
	s_cbranch_execz .LBB30_51
; %bb.55:                               ;   in Loop: Header=BB30_53 Depth=3
	v_add_nc_u32_e32 v20, 1, v21
	s_mov_b32 s36, -1
	s_mov_b32 s35, -1
	s_mov_b32 s34, exec_lo
	s_delay_alu instid0(VALU_DEP_1) | instskip(NEXT) | instid1(VALU_DEP_1)
	v_and_b32_e32 v20, 0xff, v20
	v_lshl_add_u32 v22, v20, 2, v5
	ds_load_b32 v22, v22
	s_wait_dscnt 0x0
	v_cmpx_ne_u32_e32 -1, v22
	s_cbranch_execz .LBB30_50
; %bb.56:                               ;   in Loop: Header=BB30_53 Depth=3
	s_mov_b32 s37, 0
	s_mov_b32 s35, exec_lo
	v_cmpx_ne_u32_e64 v22, v18
	s_cbranch_execz .LBB30_49
; %bb.57:                               ;   in Loop: Header=BB30_53 Depth=3
	v_add_nc_u32_e32 v20, 2, v21
	s_mov_b32 s38, -1
	s_mov_b32 s37, -1
	s_mov_b32 s36, exec_lo
	s_delay_alu instid0(VALU_DEP_1) | instskip(NEXT) | instid1(VALU_DEP_1)
	v_and_b32_e32 v20, 0xff, v20
	v_lshl_add_u32 v22, v20, 2, v5
	ds_load_b32 v22, v22
	s_wait_dscnt 0x0
	v_cmpx_ne_u32_e32 -1, v22
	s_cbranch_execz .LBB30_48
; %bb.58:                               ;   in Loop: Header=BB30_53 Depth=3
	s_mov_b32 s39, 0
	s_mov_b32 s37, exec_lo
	v_cmpx_ne_u32_e64 v22, v18
	s_cbranch_execz .LBB30_47
; %bb.59:                               ;   in Loop: Header=BB30_53 Depth=3
	v_add_nc_u32_e32 v20, 3, v21
	s_mov_b32 s40, -1
	s_mov_b32 s39, -1
	s_mov_b32 s38, exec_lo
	s_delay_alu instid0(VALU_DEP_1) | instskip(NEXT) | instid1(VALU_DEP_1)
	v_and_b32_e32 v20, 0xff, v20
	v_lshl_add_u32 v21, v20, 2, v5
	ds_load_b32 v22, v21
                                        ; implicit-def: $vgpr21
	s_wait_dscnt 0x0
	v_cmpx_ne_u32_e32 -1, v22
	s_cbranch_execz .LBB30_46
; %bb.60:                               ;   in Loop: Header=BB30_53 Depth=3
	s_mov_b32 s39, 0
	s_mov_b32 s41, exec_lo
                                        ; implicit-def: $vgpr21
	v_cmpx_ne_u32_e64 v22, v18
	s_cbranch_execz .LBB30_45
; %bb.61:                               ;   in Loop: Header=BB30_53 Depth=3
	v_dual_add_nc_u32 v19, -4, v19 :: v_dual_add_nc_u32 v21, 1, v20
	s_mov_b32 s39, exec_lo
	s_delay_alu instid0(VALU_DEP_1)
	v_cmp_eq_u32_e32 vcc_lo, 0, v19
	s_or_not1_b32 s40, vcc_lo, exec_lo
	s_branch .LBB30_45
.LBB30_62:                              ;   in Loop: Header=BB30_44 Depth=2
	s_or_b32 exec_lo, exec_lo, s25
	s_xor_b32 s25, s26, -1
	s_delay_alu instid0(SALU_CYCLE_1) | instskip(NEXT) | instid1(SALU_CYCLE_1)
	s_and_saveexec_b32 s26, s25
	s_xor_b32 s25, exec_lo, s26
	s_cbranch_execz .LBB30_43
; %bb.63:                               ;   in Loop: Header=BB30_44 Depth=2
	v_lshl_add_u32 v18, v20, 2, v16
	ds_load_b32 v24, v18
	v_lshl_add_u64 v[18:19], v[8:9], 3, s[8:9]
	global_load_b64 v[20:21], v[18:19], off
	s_wait_dscnt 0x0
	global_load_b64 v[22:23], v24, s[8:9] scale_offset
	s_wait_loadcnt 0x0
	s_wait_xcnt 0x1
	v_pk_fma_f32 v[18:19], v[10:11], v[20:21], v[22:23] op_sel_hi:[1,0,1] neg_lo:[1,0,0] neg_hi:[1,0,0]
	s_delay_alu instid0(VALU_DEP_1)
	v_pk_fma_f32 v[18:19], v[12:13], v[20:21], v[18:19] op_sel:[0,1,0]
	global_store_b64 v24, v[18:19], s[8:9] scale_offset
	s_branch .LBB30_43
.LBB30_64:
	s_or_b32 exec_lo, exec_lo, s14
	s_delay_alu instid0(SALU_CYCLE_1)
	s_mov_b32 s4, exec_lo
	s_wait_storecnt 0x0
	v_cmpx_lt_i32_e32 -1, v4
	s_cbranch_execz .LBB30_86
; %bb.65:
	global_load_b64 v[6:7], v4, s[8:9] scale_offset
	v_mov_b32_e32 v5, 0
                                        ; implicit-def: $vgpr10
	s_mov_b32 s2, exec_lo
	s_wait_loadcnt 0x0
	v_cmp_gt_f32_e32 vcc_lo, 0, v6
	v_cndmask_b32_e64 v8, v6, -v6, vcc_lo
	v_cmp_gt_f32_e32 vcc_lo, 0, v7
	v_cndmask_b32_e64 v9, v7, -v7, vcc_lo
	s_delay_alu instid0(VALU_DEP_1)
	v_cmpx_ngt_f32_e32 v8, v9
	s_xor_b32 s5, exec_lo, s2
	s_cbranch_execz .LBB30_69
; %bb.66:
	v_mov_b32_e32 v10, 0
	s_mov_b32 s6, exec_lo
	v_cmpx_neq_f32_e32 0, v7
	s_cbranch_execz .LBB30_68
; %bb.67:
	v_div_scale_f32 v10, null, v9, v9, v8
	v_div_scale_f32 v13, vcc_lo, v8, v9, v8
	s_delay_alu instid0(VALU_DEP_2) | instskip(SKIP_1) | instid1(TRANS32_DEP_1)
	v_rcp_f32_e32 v11, v10
	v_nop
	v_fma_f32 v12, -v10, v11, 1.0
	s_delay_alu instid0(VALU_DEP_1) | instskip(NEXT) | instid1(VALU_DEP_1)
	v_fmac_f32_e32 v11, v12, v11
	v_mul_f32_e32 v12, v13, v11
	s_delay_alu instid0(VALU_DEP_1) | instskip(NEXT) | instid1(VALU_DEP_1)
	v_fma_f32 v16, -v10, v12, v13
	v_fmac_f32_e32 v12, v16, v11
	s_delay_alu instid0(VALU_DEP_1) | instskip(NEXT) | instid1(VALU_DEP_1)
	v_fma_f32 v10, -v10, v12, v13
	v_div_fmas_f32 v10, v10, v11, v12
	s_delay_alu instid0(VALU_DEP_1) | instskip(NEXT) | instid1(VALU_DEP_1)
	v_div_fixup_f32 v8, v10, v9, v8
	v_fma_f32 v8, v8, v8, 1.0
	s_delay_alu instid0(VALU_DEP_1) | instskip(SKIP_1) | instid1(VALU_DEP_2)
	v_mul_f32_e32 v10, 0x4f800000, v8
	v_cmp_gt_f32_e32 vcc_lo, 0xf800000, v8
	v_cndmask_b32_e32 v8, v8, v10, vcc_lo
	s_delay_alu instid0(VALU_DEP_1) | instskip(SKIP_1) | instid1(TRANS32_DEP_1)
	v_sqrt_f32_e32 v10, v8
	v_nop
	v_dual_add_nc_u32 v11, -1, v10 :: v_dual_add_nc_u32 v12, 1, v10
	s_delay_alu instid0(VALU_DEP_1) | instskip(NEXT) | instid1(VALU_DEP_1)
	v_fma_f32 v13, -v11, v10, v8
	v_cmp_ge_f32_e64 s2, 0, v13
	s_delay_alu instid0(VALU_DEP_1) | instskip(NEXT) | instid1(VALU_DEP_1)
	v_dual_fma_f32 v16, -v12, v10, v8 :: v_dual_cndmask_b32 v10, v10, v11, s2
	v_cmp_lt_f32_e64 s2, 0, v16
	s_delay_alu instid0(VALU_DEP_1) | instskip(NEXT) | instid1(VALU_DEP_1)
	v_cndmask_b32_e64 v10, v10, v12, s2
	v_mul_f32_e32 v11, 0x37800000, v10
	s_delay_alu instid0(VALU_DEP_1) | instskip(SKIP_1) | instid1(VALU_DEP_2)
	v_cndmask_b32_e32 v10, v10, v11, vcc_lo
	v_cmp_class_f32_e64 vcc_lo, v8, 0x260
	v_cndmask_b32_e32 v8, v10, v8, vcc_lo
	s_delay_alu instid0(VALU_DEP_1)
	v_mul_f32_e32 v10, v9, v8
.LBB30_68:
	s_or_b32 exec_lo, exec_lo, s6
                                        ; implicit-def: $vgpr8
                                        ; implicit-def: $vgpr9
.LBB30_69:
	s_and_not1_saveexec_b32 s5, s5
	s_cbranch_execz .LBB30_71
; %bb.70:
	v_div_scale_f32 v10, null, v8, v8, v9
	v_div_scale_f32 v13, vcc_lo, v9, v8, v9
	s_delay_alu instid0(VALU_DEP_2) | instskip(SKIP_1) | instid1(TRANS32_DEP_1)
	v_rcp_f32_e32 v11, v10
	v_nop
	v_fma_f32 v12, -v10, v11, 1.0
	s_delay_alu instid0(VALU_DEP_1) | instskip(NEXT) | instid1(VALU_DEP_1)
	v_fmac_f32_e32 v11, v12, v11
	v_mul_f32_e32 v12, v13, v11
	s_delay_alu instid0(VALU_DEP_1) | instskip(NEXT) | instid1(VALU_DEP_1)
	v_fma_f32 v16, -v10, v12, v13
	v_fmac_f32_e32 v12, v16, v11
	s_delay_alu instid0(VALU_DEP_1) | instskip(NEXT) | instid1(VALU_DEP_1)
	v_fma_f32 v10, -v10, v12, v13
	v_div_fmas_f32 v10, v10, v11, v12
	s_delay_alu instid0(VALU_DEP_1) | instskip(NEXT) | instid1(VALU_DEP_1)
	v_div_fixup_f32 v9, v10, v8, v9
	v_fma_f32 v9, v9, v9, 1.0
	s_delay_alu instid0(VALU_DEP_1) | instskip(SKIP_1) | instid1(VALU_DEP_2)
	v_mul_f32_e32 v10, 0x4f800000, v9
	v_cmp_gt_f32_e32 vcc_lo, 0xf800000, v9
	v_cndmask_b32_e32 v9, v9, v10, vcc_lo
	s_delay_alu instid0(VALU_DEP_1) | instskip(SKIP_1) | instid1(TRANS32_DEP_1)
	v_sqrt_f32_e32 v10, v9
	v_nop
	v_dual_add_nc_u32 v11, -1, v10 :: v_dual_add_nc_u32 v12, 1, v10
	s_delay_alu instid0(VALU_DEP_1) | instskip(NEXT) | instid1(VALU_DEP_1)
	v_fma_f32 v13, -v11, v10, v9
	v_cmp_ge_f32_e64 s2, 0, v13
	s_delay_alu instid0(VALU_DEP_1) | instskip(NEXT) | instid1(VALU_DEP_1)
	v_dual_fma_f32 v16, -v12, v10, v9 :: v_dual_cndmask_b32 v10, v10, v11, s2
	v_cmp_lt_f32_e64 s2, 0, v16
	s_delay_alu instid0(VALU_DEP_1) | instskip(NEXT) | instid1(VALU_DEP_1)
	v_cndmask_b32_e64 v10, v10, v12, s2
	v_mul_f32_e32 v11, 0x37800000, v10
	s_delay_alu instid0(VALU_DEP_1) | instskip(SKIP_1) | instid1(VALU_DEP_2)
	v_cndmask_b32_e32 v10, v10, v11, vcc_lo
	v_cmp_class_f32_e64 vcc_lo, v9, 0x260
	v_cndmask_b32_e32 v9, v10, v9, vcc_lo
	s_delay_alu instid0(VALU_DEP_1)
	v_mul_f32_e32 v10, v8, v9
.LBB30_71:
	s_or_b32 exec_lo, exec_lo, s5
	s_delay_alu instid0(VALU_DEP_1)
	v_cvt_f64_f32_e32 v[8:9], v10
	v_cmp_ne_u32_e32 vcc_lo, 1, v15
	v_cmp_eq_u32_e64 s2, 0, v14
	s_mov_b32 s5, -1
	s_cbranch_vccnz .LBB30_75
; %bb.72:
	v_cvt_f64_f32_e32 v[10:11], s29
	s_cmp_eq_u64 s[20:21], 8
	s_cselect_b32 vcc_lo, -1, 0
	s_delay_alu instid0(VALU_DEP_1) | instskip(NEXT) | instid1(VALU_DEP_1)
	v_dual_cndmask_b32 v3, v11, v3 :: v_dual_cndmask_b32 v2, v10, v2
	v_cmp_ge_f64_e32 vcc_lo, v[2:3], v[8:9]
	s_and_b32 s6, s2, vcc_lo
	s_delay_alu instid0(SALU_CYCLE_1)
	s_and_saveexec_b32 s5, s6
	s_cbranch_execz .LBB30_74
; %bb.73:
	v_lshl_add_u64 v[2:3], v[4:5], 3, s[8:9]
	v_dual_mov_b32 v4, s3 :: v_dual_mov_b32 v5, s22
	global_store_b64 v[2:3], v[4:5], off
	global_wb scope:SCOPE_DEV
	s_wait_storecnt 0x0
	global_inv scope:SCOPE_DEV
.LBB30_74:
	s_wait_xcnt 0x0
	s_or_b32 exec_lo, exec_lo, s5
	s_mov_b32 s5, 0
.LBB30_75:
	s_delay_alu instid0(SALU_CYCLE_1)
	s_and_not1_b32 vcc_lo, exec_lo, s5
	s_cbranch_vccnz .LBB30_86
; %bb.76:
	s_load_b64 s[0:1], s[0:1], 0x48
	v_add_nc_u32_e32 v2, s28, v0
	s_wait_kmcnt 0x0
	v_cmp_ge_f64_e32 vcc_lo, s[0:1], v[8:9]
	s_and_b32 s1, s2, vcc_lo
	s_delay_alu instid0(SALU_CYCLE_1)
	s_and_saveexec_b32 s0, s1
	s_cbranch_execz .LBB30_81
; %bb.77:
	s_mov_b32 s3, exec_lo
	s_brev_b32 s1, -2
.LBB30_78:                              ; =>This Inner Loop Header: Depth=1
	s_ctz_i32_b32 s5, s3
	s_delay_alu instid0(SALU_CYCLE_1) | instskip(SKIP_1) | instid1(SALU_CYCLE_1)
	v_readlane_b32 s6, v2, s5
	s_lshl_b32 s5, 1, s5
	s_and_not1_b32 s3, s3, s5
	s_min_i32 s1, s1, s6
	s_cmp_lg_u32 s3, 0
	s_cbranch_scc1 .LBB30_78
; %bb.79:
	v_mbcnt_lo_u32_b32 v3, exec_lo, 0
	s_mov_b32 s3, exec_lo
	s_delay_alu instid0(VALU_DEP_1)
	v_cmpx_eq_u32_e32 0, v3
	s_xor_b32 s3, exec_lo, s3
	s_cbranch_execz .LBB30_81
; %bb.80:
	v_dual_mov_b32 v3, 0 :: v_dual_mov_b32 v4, s1
	global_atomic_min_i32 v3, v4, s[18:19] scope:SCOPE_DEV
.LBB30_81:
	s_wait_xcnt 0x0
	s_or_b32 exec_lo, exec_lo, s0
	v_cmp_eq_f32_e32 vcc_lo, 0, v6
	v_cmp_eq_f32_e64 s0, 0, v7
	s_and_b32 s0, vcc_lo, s0
	s_delay_alu instid0(SALU_CYCLE_1) | instskip(NEXT) | instid1(SALU_CYCLE_1)
	s_and_b32 s0, s2, s0
	s_and_b32 exec_lo, exec_lo, s0
	s_cbranch_execz .LBB30_86
; %bb.82:
	s_mov_b32 s1, exec_lo
	s_brev_b32 s0, -2
.LBB30_83:                              ; =>This Inner Loop Header: Depth=1
	s_ctz_i32_b32 s2, s1
	s_delay_alu instid0(SALU_CYCLE_1) | instskip(SKIP_1) | instid1(SALU_CYCLE_1)
	v_readlane_b32 s3, v2, s2
	s_lshl_b32 s2, 1, s2
	s_and_not1_b32 s1, s1, s2
	s_min_i32 s0, s0, s3
	s_cmp_lg_u32 s1, 0
	s_cbranch_scc1 .LBB30_83
; %bb.84:
	v_mbcnt_lo_u32_b32 v2, exec_lo, 0
	s_mov_b32 s1, exec_lo
	s_delay_alu instid0(VALU_DEP_1)
	v_cmpx_eq_u32_e32 0, v2
	s_xor_b32 s1, exec_lo, s1
	s_cbranch_execz .LBB30_86
; %bb.85:
	v_dual_mov_b32 v2, 0 :: v_dual_mov_b32 v3, s0
	global_atomic_min_i32 v2, v3, s[16:17] scope:SCOPE_DEV
.LBB30_86:
	s_wait_xcnt 0x0
	s_or_b32 exec_lo, exec_lo, s4
	v_cmp_eq_u32_e32 vcc_lo, 0, v14
	global_wb scope:SCOPE_DEV
	s_wait_loadcnt 0x0
	s_wait_storecnt 0x0
	global_inv scope:SCOPE_DEV
	s_and_b32 exec_lo, exec_lo, vcc_lo
	s_cbranch_execz .LBB30_88
; %bb.87:
	v_lshl_add_u64 v[0:1], v[0:1], 2, s[12:13]
	v_mov_b32_e32 v2, 1
	global_wb scope:SCOPE_DEV
	s_wait_loadcnt 0x0
	s_wait_storecnt 0x0
	global_store_b32 v[0:1], v2, off scope:SCOPE_DEV
.LBB30_88:
	s_endpgm
	.section	.rodata,"a",@progbits
	.p2align	6, 0x0
	.amdhsa_kernel _ZN9rocsparseL12csrilu0_hashILj256ELj32ELj8E21rocsparse_complex_numIfEEEviPKiS4_PT2_S4_PiS4_S7_S7_d21rocsparse_index_base_imNS_24const_host_device_scalarIfEENS9_IdEENS9_IS5_EEb
		.amdhsa_group_segment_fixed_size 16384
		.amdhsa_private_segment_fixed_size 0
		.amdhsa_kernarg_size 124
		.amdhsa_user_sgpr_count 2
		.amdhsa_user_sgpr_dispatch_ptr 0
		.amdhsa_user_sgpr_queue_ptr 0
		.amdhsa_user_sgpr_kernarg_segment_ptr 1
		.amdhsa_user_sgpr_dispatch_id 0
		.amdhsa_user_sgpr_kernarg_preload_length 0
		.amdhsa_user_sgpr_kernarg_preload_offset 0
		.amdhsa_user_sgpr_private_segment_size 0
		.amdhsa_wavefront_size32 1
		.amdhsa_uses_dynamic_stack 0
		.amdhsa_enable_private_segment 0
		.amdhsa_system_sgpr_workgroup_id_x 1
		.amdhsa_system_sgpr_workgroup_id_y 0
		.amdhsa_system_sgpr_workgroup_id_z 0
		.amdhsa_system_sgpr_workgroup_info 0
		.amdhsa_system_vgpr_workitem_id 0
		.amdhsa_next_free_vgpr 25
		.amdhsa_next_free_sgpr 42
		.amdhsa_named_barrier_count 0
		.amdhsa_reserve_vcc 1
		.amdhsa_float_round_mode_32 0
		.amdhsa_float_round_mode_16_64 0
		.amdhsa_float_denorm_mode_32 3
		.amdhsa_float_denorm_mode_16_64 3
		.amdhsa_fp16_overflow 0
		.amdhsa_memory_ordered 1
		.amdhsa_forward_progress 1
		.amdhsa_inst_pref_size 28
		.amdhsa_round_robin_scheduling 0
		.amdhsa_exception_fp_ieee_invalid_op 0
		.amdhsa_exception_fp_denorm_src 0
		.amdhsa_exception_fp_ieee_div_zero 0
		.amdhsa_exception_fp_ieee_overflow 0
		.amdhsa_exception_fp_ieee_underflow 0
		.amdhsa_exception_fp_ieee_inexact 0
		.amdhsa_exception_int_div_zero 0
	.end_amdhsa_kernel
	.section	.text._ZN9rocsparseL12csrilu0_hashILj256ELj32ELj8E21rocsparse_complex_numIfEEEviPKiS4_PT2_S4_PiS4_S7_S7_d21rocsparse_index_base_imNS_24const_host_device_scalarIfEENS9_IdEENS9_IS5_EEb,"axG",@progbits,_ZN9rocsparseL12csrilu0_hashILj256ELj32ELj8E21rocsparse_complex_numIfEEEviPKiS4_PT2_S4_PiS4_S7_S7_d21rocsparse_index_base_imNS_24const_host_device_scalarIfEENS9_IdEENS9_IS5_EEb,comdat
.Lfunc_end30:
	.size	_ZN9rocsparseL12csrilu0_hashILj256ELj32ELj8E21rocsparse_complex_numIfEEEviPKiS4_PT2_S4_PiS4_S7_S7_d21rocsparse_index_base_imNS_24const_host_device_scalarIfEENS9_IdEENS9_IS5_EEb, .Lfunc_end30-_ZN9rocsparseL12csrilu0_hashILj256ELj32ELj8E21rocsparse_complex_numIfEEEviPKiS4_PT2_S4_PiS4_S7_S7_d21rocsparse_index_base_imNS_24const_host_device_scalarIfEENS9_IdEENS9_IS5_EEb
                                        ; -- End function
	.set _ZN9rocsparseL12csrilu0_hashILj256ELj32ELj8E21rocsparse_complex_numIfEEEviPKiS4_PT2_S4_PiS4_S7_S7_d21rocsparse_index_base_imNS_24const_host_device_scalarIfEENS9_IdEENS9_IS5_EEb.num_vgpr, 25
	.set _ZN9rocsparseL12csrilu0_hashILj256ELj32ELj8E21rocsparse_complex_numIfEEEviPKiS4_PT2_S4_PiS4_S7_S7_d21rocsparse_index_base_imNS_24const_host_device_scalarIfEENS9_IdEENS9_IS5_EEb.num_agpr, 0
	.set _ZN9rocsparseL12csrilu0_hashILj256ELj32ELj8E21rocsparse_complex_numIfEEEviPKiS4_PT2_S4_PiS4_S7_S7_d21rocsparse_index_base_imNS_24const_host_device_scalarIfEENS9_IdEENS9_IS5_EEb.numbered_sgpr, 42
	.set _ZN9rocsparseL12csrilu0_hashILj256ELj32ELj8E21rocsparse_complex_numIfEEEviPKiS4_PT2_S4_PiS4_S7_S7_d21rocsparse_index_base_imNS_24const_host_device_scalarIfEENS9_IdEENS9_IS5_EEb.num_named_barrier, 0
	.set _ZN9rocsparseL12csrilu0_hashILj256ELj32ELj8E21rocsparse_complex_numIfEEEviPKiS4_PT2_S4_PiS4_S7_S7_d21rocsparse_index_base_imNS_24const_host_device_scalarIfEENS9_IdEENS9_IS5_EEb.private_seg_size, 0
	.set _ZN9rocsparseL12csrilu0_hashILj256ELj32ELj8E21rocsparse_complex_numIfEEEviPKiS4_PT2_S4_PiS4_S7_S7_d21rocsparse_index_base_imNS_24const_host_device_scalarIfEENS9_IdEENS9_IS5_EEb.uses_vcc, 1
	.set _ZN9rocsparseL12csrilu0_hashILj256ELj32ELj8E21rocsparse_complex_numIfEEEviPKiS4_PT2_S4_PiS4_S7_S7_d21rocsparse_index_base_imNS_24const_host_device_scalarIfEENS9_IdEENS9_IS5_EEb.uses_flat_scratch, 0
	.set _ZN9rocsparseL12csrilu0_hashILj256ELj32ELj8E21rocsparse_complex_numIfEEEviPKiS4_PT2_S4_PiS4_S7_S7_d21rocsparse_index_base_imNS_24const_host_device_scalarIfEENS9_IdEENS9_IS5_EEb.has_dyn_sized_stack, 0
	.set _ZN9rocsparseL12csrilu0_hashILj256ELj32ELj8E21rocsparse_complex_numIfEEEviPKiS4_PT2_S4_PiS4_S7_S7_d21rocsparse_index_base_imNS_24const_host_device_scalarIfEENS9_IdEENS9_IS5_EEb.has_recursion, 0
	.set _ZN9rocsparseL12csrilu0_hashILj256ELj32ELj8E21rocsparse_complex_numIfEEEviPKiS4_PT2_S4_PiS4_S7_S7_d21rocsparse_index_base_imNS_24const_host_device_scalarIfEENS9_IdEENS9_IS5_EEb.has_indirect_call, 0
	.section	.AMDGPU.csdata,"",@progbits
; Kernel info:
; codeLenInByte = 3540
; TotalNumSgprs: 44
; NumVgprs: 25
; ScratchSize: 0
; MemoryBound: 0
; FloatMode: 240
; IeeeMode: 1
; LDSByteSize: 16384 bytes/workgroup (compile time only)
; SGPRBlocks: 0
; VGPRBlocks: 1
; NumSGPRsForWavesPerEU: 44
; NumVGPRsForWavesPerEU: 25
; NamedBarCnt: 0
; Occupancy: 16
; WaveLimiterHint : 1
; COMPUTE_PGM_RSRC2:SCRATCH_EN: 0
; COMPUTE_PGM_RSRC2:USER_SGPR: 2
; COMPUTE_PGM_RSRC2:TRAP_HANDLER: 0
; COMPUTE_PGM_RSRC2:TGID_X_EN: 1
; COMPUTE_PGM_RSRC2:TGID_Y_EN: 0
; COMPUTE_PGM_RSRC2:TGID_Z_EN: 0
; COMPUTE_PGM_RSRC2:TIDIG_COMP_CNT: 0
	.section	.text._ZN9rocsparseL12csrilu0_hashILj256ELj32ELj16E21rocsparse_complex_numIfEEEviPKiS4_PT2_S4_PiS4_S7_S7_d21rocsparse_index_base_imNS_24const_host_device_scalarIfEENS9_IdEENS9_IS5_EEb,"axG",@progbits,_ZN9rocsparseL12csrilu0_hashILj256ELj32ELj16E21rocsparse_complex_numIfEEEviPKiS4_PT2_S4_PiS4_S7_S7_d21rocsparse_index_base_imNS_24const_host_device_scalarIfEENS9_IdEENS9_IS5_EEb,comdat
	.globl	_ZN9rocsparseL12csrilu0_hashILj256ELj32ELj16E21rocsparse_complex_numIfEEEviPKiS4_PT2_S4_PiS4_S7_S7_d21rocsparse_index_base_imNS_24const_host_device_scalarIfEENS9_IdEENS9_IS5_EEb ; -- Begin function _ZN9rocsparseL12csrilu0_hashILj256ELj32ELj16E21rocsparse_complex_numIfEEEviPKiS4_PT2_S4_PiS4_S7_S7_d21rocsparse_index_base_imNS_24const_host_device_scalarIfEENS9_IdEENS9_IS5_EEb
	.p2align	8
	.type	_ZN9rocsparseL12csrilu0_hashILj256ELj32ELj16E21rocsparse_complex_numIfEEEviPKiS4_PT2_S4_PiS4_S7_S7_d21rocsparse_index_base_imNS_24const_host_device_scalarIfEENS9_IdEENS9_IS5_EEb,@function
_ZN9rocsparseL12csrilu0_hashILj256ELj32ELj16E21rocsparse_complex_numIfEEEviPKiS4_PT2_S4_PiS4_S7_S7_d21rocsparse_index_base_imNS_24const_host_device_scalarIfEENS9_IdEENS9_IS5_EEb: ; @_ZN9rocsparseL12csrilu0_hashILj256ELj32ELj16E21rocsparse_complex_numIfEEEviPKiS4_PT2_S4_PiS4_S7_S7_d21rocsparse_index_base_imNS_24const_host_device_scalarIfEENS9_IdEENS9_IS5_EEb
; %bb.0:
	s_clause 0x2
	s_load_b32 s2, s[0:1], 0x78
	s_load_b64 s[28:29], s[0:1], 0x50
	s_load_b256 s[20:27], s[0:1], 0x58
	s_wait_kmcnt 0x0
	s_bitcmp1_b32 s2, 0
	s_cselect_b32 s4, -1, 0
	s_cmp_eq_u32 s29, 0
	s_cselect_b32 s2, -1, 0
	s_cmp_lg_u32 s29, 0
	s_cselect_b32 s5, -1, 0
	s_or_b32 s7, s2, s4
	s_delay_alu instid0(SALU_CYCLE_1)
	s_xor_b32 s6, s7, -1
	s_and_b32 s2, s2, exec_lo
	s_cselect_b32 s3, 0, s25
	s_cselect_b32 s2, 0, s24
	;; [unrolled: 1-line block ×3, first 2 shown]
	s_and_b32 vcc_lo, exec_lo, s7
	s_cbranch_vccnz .LBB31_2
; %bb.1:
	s_load_b32 s29, s[22:23], 0x0
	s_mov_b64 s[2:3], s[24:25]
.LBB31_2:
	s_delay_alu instid0(SALU_CYCLE_1)
	v_mov_b64_e32 v[4:5], s[2:3]
	s_and_not1_b32 vcc_lo, exec_lo, s6
	s_cbranch_vccnz .LBB31_4
; %bb.3:
	v_mov_b32_e32 v1, 0
	flat_load_b64 v[4:5], v1, s[24:25]
.LBB31_4:
	v_cndmask_b32_e64 v15, 0, 1, s5
	s_mov_b32 s3, 0
	s_and_not1_b32 vcc_lo, exec_lo, s5
	s_wait_xcnt 0x0
	s_mov_b32 s22, 0
	s_cbranch_vccnz .LBB31_10
; %bb.5:
	s_xor_b32 s2, s4, -1
	s_mov_b32 s3, s26
	v_cndmask_b32_e64 v1, 0, 1, s2
	s_and_not1_b32 vcc_lo, exec_lo, s2
	s_cbranch_vccnz .LBB31_7
; %bb.6:
	s_load_b32 s3, s[26:27], 0x0
.LBB31_7:
	s_delay_alu instid0(VALU_DEP_1)
	v_cmp_ne_u32_e32 vcc_lo, 1, v1
	s_cbranch_vccnz .LBB31_9
; %bb.8:
	s_wait_xcnt 0x0
	s_load_b32 s27, s[26:27], 0x4
.LBB31_9:
	s_wait_kmcnt 0x0
	s_mov_b32 s22, s27
.LBB31_10:
	v_dual_lshrrev_b32 v1, 5, v0 :: v_dual_bitop2_b32 v14, 31, v0 bitop3:0x40
	s_mov_b32 s2, 0
	s_delay_alu instid0(VALU_DEP_1) | instskip(SKIP_1) | instid1(VALU_DEP_2)
	v_dual_lshlrev_b32 v3, 11, v1 :: v_dual_lshlrev_b32 v6, 2, v14
	v_or_b32_e32 v2, 0xffffffe0, v14
	v_or3_b32 v3, v3, v6, 0x4000
	v_mov_b32_e32 v6, -1
.LBB31_11:                              ; =>This Inner Loop Header: Depth=1
	s_delay_alu instid0(VALU_DEP_3) | instskip(SKIP_4) | instid1(SALU_CYCLE_1)
	v_add_nc_u32_e32 v2, 32, v2
	ds_store_b32 v3, v6
	v_add_nc_u32_e32 v3, 0x80, v3
	v_cmp_lt_u32_e32 vcc_lo, 0x1df, v2
	s_or_b32 s2, vcc_lo, s2
	s_and_not1_b32 exec_lo, exec_lo, s2
	s_cbranch_execnz .LBB31_11
; %bb.12:
	s_or_b32 exec_lo, exec_lo, s2
	s_load_b32 s2, s[0:1], 0x0
	s_bfe_u32 s4, ttmp6, 0x4000c
	s_and_b32 s5, ttmp6, 15
	s_add_co_i32 s4, s4, 1
	s_getreg_b32 s6, hwreg(HW_REG_IB_STS2, 6, 4)
	s_mul_i32 s4, ttmp9, s4
	s_wait_loadcnt_dscnt 0x0
	s_add_co_i32 s5, s5, s4
	s_cmp_eq_u32 s6, 0
	s_cselect_b32 s4, ttmp9, s5
	s_delay_alu instid0(SALU_CYCLE_1) | instskip(NEXT) | instid1(SALU_CYCLE_1)
	s_lshl_b32 s4, s4, 3
	v_and_or_b32 v1, 0x7fffff8, s4, v1
	s_wait_kmcnt 0x0
	s_delay_alu instid0(VALU_DEP_1)
	v_cmp_gt_i32_e32 vcc_lo, s2, v1
	s_and_saveexec_b32 s2, vcc_lo
	s_cbranch_execz .LBB31_90
; %bb.13:
	s_load_b512 s[4:19], s[0:1], 0x8
	s_mov_b32 s2, exec_lo
	s_wait_kmcnt 0x0
	global_load_b32 v2, v1, s[14:15] scale_offset
	s_wait_xcnt 0x0
	v_lshlrev_b32_e32 v1, 6, v0
	s_delay_alu instid0(VALU_DEP_1) | instskip(NEXT) | instid1(VALU_DEP_1)
	v_and_b32_e32 v7, 0x3800, v1
	v_or_b32_e32 v16, 0x4000, v7
	s_wait_loadcnt 0x0
	v_ashrrev_i32_e32 v3, 31, v2
	s_delay_alu instid0(VALU_DEP_1)
	v_lshl_add_u64 v[8:9], v[2:3], 2, s[4:5]
	global_load_b64 v[10:11], v[8:9], off
	global_load_b32 v6, v2, s[10:11] scale_offset
	s_wait_loadcnt 0x1
	v_subrev_nc_u32_e32 v0, s28, v10
	v_subrev_nc_u32_e32 v1, s28, v11
	s_delay_alu instid0(VALU_DEP_2) | instskip(SKIP_1) | instid1(VALU_DEP_1)
	v_add_nc_u32_e32 v8, v0, v14
	s_wait_xcnt 0x0
	v_cmpx_lt_i32_e64 v8, v1
	s_cbranch_execz .LBB31_36
; %bb.14:
	v_mov_b32_e32 v9, -1
	s_mov_b32 s14, 0
	s_branch .LBB31_16
.LBB31_15:                              ;   in Loop: Header=BB31_16 Depth=1
	s_or_b32 exec_lo, exec_lo, s15
	v_add_nc_u32_e32 v8, 32, v8
	s_delay_alu instid0(VALU_DEP_1) | instskip(SKIP_1) | instid1(SALU_CYCLE_1)
	v_cmp_ge_i32_e32 vcc_lo, v8, v1
	s_or_b32 s14, vcc_lo, s14
	s_and_not1_b32 exec_lo, exec_lo, s14
	s_cbranch_execz .LBB31_36
.LBB31_16:                              ; =>This Loop Header: Depth=1
                                        ;     Child Loop BB31_25 Depth 2
	global_load_b32 v10, v8, s[6:7] scale_offset
	v_mov_b32_e32 v11, 0x200
	s_mov_b32 s15, 0
                                        ; implicit-def: $sgpr23
                                        ; implicit-def: $sgpr24
                                        ; implicit-def: $sgpr25
	s_wait_loadcnt 0x0
	v_mul_lo_u32 v13, 0x67, v10
	s_branch .LBB31_25
.LBB31_17:                              ;   in Loop: Header=BB31_25 Depth=2
	s_or_b32 exec_lo, exec_lo, s38
	s_delay_alu instid0(SALU_CYCLE_1)
	s_or_not1_b32 s36, s36, exec_lo
	s_or_not1_b32 s37, s37, exec_lo
.LBB31_18:                              ;   in Loop: Header=BB31_25 Depth=2
	s_or_b32 exec_lo, exec_lo, s35
	s_delay_alu instid0(SALU_CYCLE_1)
	s_and_b32 s36, s36, exec_lo
	s_or_not1_b32 s35, s37, exec_lo
.LBB31_19:                              ;   in Loop: Header=BB31_25 Depth=2
	s_or_b32 exec_lo, exec_lo, s34
	s_delay_alu instid0(SALU_CYCLE_1)
	s_or_not1_b32 s34, s36, exec_lo
	s_or_not1_b32 s35, s35, exec_lo
.LBB31_20:                              ;   in Loop: Header=BB31_25 Depth=2
	s_or_b32 exec_lo, exec_lo, s33
	s_delay_alu instid0(SALU_CYCLE_1)
	s_and_b32 s34, s34, exec_lo
	s_or_not1_b32 s33, s35, exec_lo
.LBB31_21:                              ;   in Loop: Header=BB31_25 Depth=2
	s_or_b32 exec_lo, exec_lo, s31
	s_delay_alu instid0(SALU_CYCLE_1)
	s_or_not1_b32 s31, s34, exec_lo
	s_or_not1_b32 s33, s33, exec_lo
.LBB31_22:                              ;   in Loop: Header=BB31_25 Depth=2
	s_or_b32 exec_lo, exec_lo, s30
	s_delay_alu instid0(SALU_CYCLE_1)
	s_and_b32 s31, s31, exec_lo
	s_or_not1_b32 s30, s33, exec_lo
.LBB31_23:                              ;   in Loop: Header=BB31_25 Depth=2
	s_or_b32 exec_lo, exec_lo, s27
	s_delay_alu instid0(SALU_CYCLE_1)
	s_and_not1_b32 s25, s25, exec_lo
	s_and_b32 s27, s31, exec_lo
	s_and_not1_b32 s24, s24, exec_lo
	s_and_b32 s30, s30, exec_lo
	s_or_b32 s25, s25, s27
	s_or_b32 s24, s24, s30
.LBB31_24:                              ;   in Loop: Header=BB31_25 Depth=2
	s_or_b32 exec_lo, exec_lo, s26
	s_delay_alu instid0(SALU_CYCLE_1) | instskip(NEXT) | instid1(SALU_CYCLE_1)
	s_and_b32 s26, exec_lo, s24
	s_or_b32 s15, s26, s15
	s_and_not1_b32 s23, s23, exec_lo
	s_and_b32 s26, s25, exec_lo
	s_delay_alu instid0(SALU_CYCLE_1)
	s_or_b32 s23, s23, s26
	s_and_not1_b32 exec_lo, exec_lo, s15
	s_cbranch_execz .LBB31_34
.LBB31_25:                              ;   Parent Loop BB31_16 Depth=1
                                        ; =>  This Inner Loop Header: Depth=2
	s_delay_alu instid0(VALU_DEP_1) | instskip(SKIP_3) | instid1(VALU_DEP_1)
	v_and_b32_e32 v12, 0x1ff, v13
	s_or_b32 s25, s25, exec_lo
	s_or_b32 s24, s24, exec_lo
	s_mov_b32 s26, exec_lo
	v_lshl_add_u32 v17, v12, 2, v16
	ds_load_b32 v18, v17
	s_wait_dscnt 0x0
	s_wait_xcnt 0x0
	v_cmpx_ne_u32_e64 v18, v10
	s_cbranch_execz .LBB31_24
; %bb.26:                               ;   in Loop: Header=BB31_25 Depth=2
	ds_cmpstore_rtn_b32 v17, v17, v10, v9
	s_mov_b32 s30, -1
	s_mov_b32 s31, 0
	s_mov_b32 s27, exec_lo
	s_wait_dscnt 0x0
	v_cmpx_ne_u32_e32 -1, v17
	s_cbranch_execz .LBB31_23
; %bb.27:                               ;   in Loop: Header=BB31_25 Depth=2
	v_add_nc_u32_e32 v12, 1, v13
	s_mov_b32 s33, -1
	s_mov_b32 s31, -1
	s_mov_b32 s30, exec_lo
	s_delay_alu instid0(VALU_DEP_1) | instskip(NEXT) | instid1(VALU_DEP_1)
	v_and_b32_e32 v12, 0x1ff, v12
	v_lshl_add_u32 v17, v12, 2, v16
	ds_load_b32 v18, v17
	s_wait_dscnt 0x0
	v_cmpx_ne_u32_e64 v18, v10
	s_cbranch_execz .LBB31_22
; %bb.28:                               ;   in Loop: Header=BB31_25 Depth=2
	ds_cmpstore_rtn_b32 v17, v17, v10, v9
	s_mov_b32 s34, 0
	s_mov_b32 s31, exec_lo
	s_wait_dscnt 0x0
	v_cmpx_ne_u32_e32 -1, v17
	s_cbranch_execz .LBB31_21
; %bb.29:                               ;   in Loop: Header=BB31_25 Depth=2
	v_add_nc_u32_e32 v12, 2, v13
	s_mov_b32 s35, -1
	s_mov_b32 s34, -1
	s_mov_b32 s33, exec_lo
	s_delay_alu instid0(VALU_DEP_1) | instskip(NEXT) | instid1(VALU_DEP_1)
	v_and_b32_e32 v12, 0x1ff, v12
	v_lshl_add_u32 v17, v12, 2, v16
	ds_load_b32 v18, v17
	s_wait_dscnt 0x0
	v_cmpx_ne_u32_e64 v18, v10
	s_cbranch_execz .LBB31_20
; %bb.30:                               ;   in Loop: Header=BB31_25 Depth=2
	ds_cmpstore_rtn_b32 v17, v17, v10, v9
	s_mov_b32 s36, 0
	s_mov_b32 s34, exec_lo
	s_wait_dscnt 0x0
	v_cmpx_ne_u32_e32 -1, v17
	s_cbranch_execz .LBB31_19
; %bb.31:                               ;   in Loop: Header=BB31_25 Depth=2
	v_add_nc_u32_e32 v12, 3, v13
	s_mov_b32 s37, -1
	s_mov_b32 s36, -1
	s_delay_alu instid0(VALU_DEP_1) | instskip(NEXT) | instid1(VALU_DEP_1)
	v_and_b32_e32 v12, 0x1ff, v12
	v_lshl_add_u32 v17, v12, 2, v16
	ds_load_b32 v13, v17
	s_wait_dscnt 0x0
	v_cmp_ne_u32_e32 vcc_lo, v13, v10
                                        ; implicit-def: $vgpr13
	s_and_saveexec_b32 s35, vcc_lo
	s_cbranch_execz .LBB31_18
; %bb.32:                               ;   in Loop: Header=BB31_25 Depth=2
	ds_cmpstore_rtn_b32 v13, v17, v10, v9
	s_mov_b32 s36, 0
	s_wait_dscnt 0x0
	v_cmp_ne_u32_e32 vcc_lo, -1, v13
                                        ; implicit-def: $vgpr13
	s_and_saveexec_b32 s38, vcc_lo
	s_cbranch_execz .LBB31_17
; %bb.33:                               ;   in Loop: Header=BB31_25 Depth=2
	v_dual_add_nc_u32 v11, -4, v11 :: v_dual_add_nc_u32 v13, 1, v12
	s_mov_b32 s36, exec_lo
	s_delay_alu instid0(VALU_DEP_1)
	v_cmp_eq_u32_e32 vcc_lo, 0, v11
	s_or_not1_b32 s37, vcc_lo, exec_lo
	s_branch .LBB31_17
.LBB31_34:                              ;   in Loop: Header=BB31_16 Depth=1
	s_or_b32 exec_lo, exec_lo, s15
	s_xor_b32 s15, s23, -1
	s_delay_alu instid0(SALU_CYCLE_1) | instskip(NEXT) | instid1(SALU_CYCLE_1)
	s_and_saveexec_b32 s23, s15
	s_xor_b32 s15, exec_lo, s23
	s_cbranch_execz .LBB31_15
; %bb.35:                               ;   in Loop: Header=BB31_16 Depth=1
	v_lshl_add_u32 v10, v12, 2, v7
	ds_store_b32 v10, v8
	s_branch .LBB31_15
.LBB31_36:
	s_or_b32 exec_lo, exec_lo, s2
	s_delay_alu instid0(SALU_CYCLE_1)
	s_mov_b32 s14, exec_lo
	s_wait_loadcnt_dscnt 0x0
	v_cmpx_lt_i32_e64 v0, v6
	s_cbranch_execz .LBB31_66
; %bb.37:
	v_add_nc_u32_e32 v17, 1, v14
	s_mov_b32 s15, 0
	s_branch .LBB31_40
.LBB31_38:                              ;   in Loop: Header=BB31_40 Depth=1
	s_or_b32 exec_lo, exec_lo, s23
	v_add_nc_u32_e32 v0, 1, v0
	s_delay_alu instid0(VALU_DEP_1)
	v_cmp_ge_i32_e32 vcc_lo, v0, v6
	s_or_not1_b32 s23, vcc_lo, exec_lo
.LBB31_39:                              ;   in Loop: Header=BB31_40 Depth=1
	s_or_b32 exec_lo, exec_lo, s2
	s_delay_alu instid0(SALU_CYCLE_1) | instskip(NEXT) | instid1(SALU_CYCLE_1)
	s_and_b32 s2, exec_lo, s23
	s_or_b32 s15, s2, s15
	s_delay_alu instid0(SALU_CYCLE_1)
	s_and_not1_b32 exec_lo, exec_lo, s15
	s_cbranch_execz .LBB31_66
.LBB31_40:                              ; =>This Loop Header: Depth=1
                                        ;     Child Loop BB31_41 Depth 2
                                        ;     Child Loop BB31_46 Depth 2
                                        ;       Child Loop BB31_55 Depth 3
	s_clause 0x1
	global_load_b32 v1, v0, s[6:7] scale_offset
	global_load_b64 v[8:9], v0, s[8:9] scale_offset
	s_mov_b32 s2, 0
	s_wait_loadcnt 0x1
	v_subrev_nc_u32_e32 v10, s28, v1
	v_ashrrev_i32_e32 v1, 31, v0
	s_clause 0x1
	global_load_b32 v19, v10, s[4:5] offset:4 scale_offset
	global_load_b32 v18, v10, s[10:11] scale_offset
	v_ashrrev_i32_e32 v11, 31, v10
	v_lshl_add_u64 v[12:13], v[0:1], 3, s[8:9]
	s_wait_xcnt 0x0
	s_delay_alu instid0(VALU_DEP_2)
	v_lshl_add_u64 v[10:11], v[10:11], 2, s[12:13]
.LBB31_41:                              ;   Parent Loop BB31_40 Depth=1
                                        ; =>  This Inner Loop Header: Depth=2
	global_load_b32 v1, v[10:11], off scope:SCOPE_DEV
	s_wait_loadcnt 0x0
	v_cmp_ne_u32_e32 vcc_lo, 0, v1
	s_or_b32 s2, vcc_lo, s2
	s_wait_xcnt 0x0
	s_and_not1_b32 exec_lo, exec_lo, s2
	s_cbranch_execnz .LBB31_41
; %bb.42:                               ;   in Loop: Header=BB31_40 Depth=1
	s_or_b32 exec_lo, exec_lo, s2
	v_subrev_nc_u32_e32 v1, s28, v19
	v_cmp_eq_u32_e32 vcc_lo, -1, v18
	global_inv scope:SCOPE_DEV
	s_mov_b32 s23, -1
	v_add_nc_u32_e32 v10, -1, v1
	s_delay_alu instid0(VALU_DEP_1)
	v_cndmask_b32_e32 v18, v18, v10, vcc_lo
	global_load_b64 v[10:11], v18, s[8:9] scale_offset
	s_wait_loadcnt 0x0
	v_cmp_neq_f32_e32 vcc_lo, 0, v10
	v_cmp_neq_f32_e64 s2, 0, v11
	s_or_b32 s24, vcc_lo, s2
	s_wait_xcnt 0x0
	s_and_saveexec_b32 s2, s24
	s_cbranch_execz .LBB31_39
; %bb.43:                               ;   in Loop: Header=BB31_40 Depth=1
	v_mul_f32_e32 v19, v11, v11
	s_mov_b32 s23, exec_lo
	s_delay_alu instid0(VALU_DEP_1) | instskip(NEXT) | instid1(VALU_DEP_1)
	v_fmac_f32_e32 v19, v10, v10
	v_div_scale_f32 v20, null, v19, v19, 1.0
	v_div_scale_f32 v23, vcc_lo, 1.0, v19, 1.0
	s_delay_alu instid0(VALU_DEP_2) | instskip(SKIP_1) | instid1(TRANS32_DEP_1)
	v_rcp_f32_e32 v21, v20
	v_nop
	v_fma_f32 v22, -v20, v21, 1.0
	s_delay_alu instid0(VALU_DEP_1) | instskip(NEXT) | instid1(VALU_DEP_1)
	v_fmac_f32_e32 v21, v22, v21
	v_mul_f32_e32 v22, v23, v21
	s_delay_alu instid0(VALU_DEP_1) | instskip(NEXT) | instid1(VALU_DEP_1)
	v_fma_f32 v24, -v20, v22, v23
	v_fmac_f32_e32 v22, v24, v21
	s_delay_alu instid0(VALU_DEP_1) | instskip(NEXT) | instid1(VALU_DEP_1)
	v_dual_fma_f32 v23, -v20, v22, v23 :: v_dual_mov_b32 v20, v11
	v_div_fmas_f32 v11, v23, v21, v22
	s_delay_alu instid0(VALU_DEP_2) | instskip(NEXT) | instid1(VALU_DEP_2)
	v_pk_mul_f32 v[20:21], v[8:9], v[20:21] op_sel:[1,0] op_sel_hi:[0,0] neg_hi:[1,0]
	v_div_fixup_f32 v22, v11, v19, 1.0
	s_delay_alu instid0(VALU_DEP_2) | instskip(SKIP_1) | instid1(VALU_DEP_2)
	v_pk_fma_f32 v[10:11], v[8:9], v[10:11], v[20:21] op_sel_hi:[1,0,1]
	v_add_nc_u32_e32 v8, v17, v18
	v_pk_mul_f32 v[10:11], v[10:11], v[22:23] op_sel_hi:[1,0]
	global_store_b64 v[12:13], v[10:11], off
	s_wait_xcnt 0x0
	v_cmpx_lt_i32_e64 v8, v1
	s_cbranch_execz .LBB31_38
; %bb.44:                               ;   in Loop: Header=BB31_40 Depth=1
	v_xor_b32_e32 v13, 0x80000000, v10
	v_mov_b32_e32 v12, v11
	s_mov_b32 s24, 0
	s_branch .LBB31_46
.LBB31_45:                              ;   in Loop: Header=BB31_46 Depth=2
	s_wait_xcnt 0x0
	s_or_b32 exec_lo, exec_lo, s25
	v_add_nc_u32_e32 v8, 32, v8
	s_delay_alu instid0(VALU_DEP_1) | instskip(SKIP_1) | instid1(SALU_CYCLE_1)
	v_cmp_ge_i32_e32 vcc_lo, v8, v1
	s_or_b32 s24, vcc_lo, s24
	s_and_not1_b32 exec_lo, exec_lo, s24
	s_cbranch_execz .LBB31_38
.LBB31_46:                              ;   Parent Loop BB31_40 Depth=1
                                        ; =>  This Loop Header: Depth=2
                                        ;       Child Loop BB31_55 Depth 3
	global_load_b32 v18, v8, s[6:7] scale_offset
	v_ashrrev_i32_e32 v9, 31, v8
	v_mov_b32_e32 v19, 0x200
	s_mov_b32 s25, 0
                                        ; implicit-def: $sgpr26
                                        ; implicit-def: $sgpr27
                                        ; implicit-def: $sgpr30
	s_wait_loadcnt 0x0
	v_mul_lo_u32 v21, 0x67, v18
	s_branch .LBB31_55
.LBB31_47:                              ;   in Loop: Header=BB31_55 Depth=3
	s_or_b32 exec_lo, exec_lo, s41
	s_delay_alu instid0(SALU_CYCLE_1)
	s_or_not1_b32 s39, s39, exec_lo
	s_or_not1_b32 s40, s40, exec_lo
.LBB31_48:                              ;   in Loop: Header=BB31_55 Depth=3
	s_or_b32 exec_lo, exec_lo, s38
	s_delay_alu instid0(SALU_CYCLE_1)
	s_and_b32 s39, s39, exec_lo
	s_or_not1_b32 s38, s40, exec_lo
.LBB31_49:                              ;   in Loop: Header=BB31_55 Depth=3
	s_or_b32 exec_lo, exec_lo, s37
	s_delay_alu instid0(SALU_CYCLE_1)
	s_or_not1_b32 s37, s39, exec_lo
	s_or_not1_b32 s38, s38, exec_lo
.LBB31_50:                              ;   in Loop: Header=BB31_55 Depth=3
	s_or_b32 exec_lo, exec_lo, s36
	s_delay_alu instid0(SALU_CYCLE_1)
	s_and_b32 s37, s37, exec_lo
	s_or_not1_b32 s36, s38, exec_lo
.LBB31_51:                              ;   in Loop: Header=BB31_55 Depth=3
	s_or_b32 exec_lo, exec_lo, s35
	s_delay_alu instid0(SALU_CYCLE_1)
	s_or_not1_b32 s35, s37, exec_lo
	s_or_not1_b32 s36, s36, exec_lo
.LBB31_52:                              ;   in Loop: Header=BB31_55 Depth=3
	s_or_b32 exec_lo, exec_lo, s34
	s_delay_alu instid0(SALU_CYCLE_1)
	s_and_b32 s35, s35, exec_lo
	s_or_not1_b32 s34, s36, exec_lo
.LBB31_53:                              ;   in Loop: Header=BB31_55 Depth=3
	s_or_b32 exec_lo, exec_lo, s33
	s_delay_alu instid0(SALU_CYCLE_1)
	s_and_not1_b32 s30, s30, exec_lo
	s_and_b32 s33, s35, exec_lo
	s_and_not1_b32 s27, s27, exec_lo
	s_and_b32 s34, s34, exec_lo
	s_or_b32 s30, s30, s33
	s_or_b32 s27, s27, s34
.LBB31_54:                              ;   in Loop: Header=BB31_55 Depth=3
	s_or_b32 exec_lo, exec_lo, s31
	s_delay_alu instid0(SALU_CYCLE_1) | instskip(NEXT) | instid1(SALU_CYCLE_1)
	s_and_b32 s31, exec_lo, s27
	s_or_b32 s25, s31, s25
	s_and_not1_b32 s26, s26, exec_lo
	s_and_b32 s31, s30, exec_lo
	s_delay_alu instid0(SALU_CYCLE_1)
	s_or_b32 s26, s26, s31
	s_and_not1_b32 exec_lo, exec_lo, s25
	s_cbranch_execz .LBB31_64
.LBB31_55:                              ;   Parent Loop BB31_40 Depth=1
                                        ;     Parent Loop BB31_46 Depth=2
                                        ; =>    This Inner Loop Header: Depth=3
	s_delay_alu instid0(VALU_DEP_1) | instskip(SKIP_3) | instid1(VALU_DEP_1)
	v_and_b32_e32 v20, 0x1ff, v21
	s_or_b32 s30, s30, exec_lo
	s_or_b32 s27, s27, exec_lo
	s_mov_b32 s31, exec_lo
	v_lshl_add_u32 v22, v20, 2, v16
	ds_load_b32 v22, v22
	s_wait_dscnt 0x0
	s_wait_xcnt 0x0
	v_cmpx_ne_u32_e32 -1, v22
	s_cbranch_execz .LBB31_54
; %bb.56:                               ;   in Loop: Header=BB31_55 Depth=3
	s_mov_b32 s34, -1
	s_mov_b32 s35, 0
	s_mov_b32 s33, exec_lo
	v_cmpx_ne_u32_e64 v22, v18
	s_cbranch_execz .LBB31_53
; %bb.57:                               ;   in Loop: Header=BB31_55 Depth=3
	v_add_nc_u32_e32 v20, 1, v21
	s_mov_b32 s36, -1
	s_mov_b32 s35, -1
	s_mov_b32 s34, exec_lo
	s_delay_alu instid0(VALU_DEP_1) | instskip(NEXT) | instid1(VALU_DEP_1)
	v_and_b32_e32 v20, 0x1ff, v20
	v_lshl_add_u32 v22, v20, 2, v16
	ds_load_b32 v22, v22
	s_wait_dscnt 0x0
	v_cmpx_ne_u32_e32 -1, v22
	s_cbranch_execz .LBB31_52
; %bb.58:                               ;   in Loop: Header=BB31_55 Depth=3
	s_mov_b32 s37, 0
	s_mov_b32 s35, exec_lo
	v_cmpx_ne_u32_e64 v22, v18
	s_cbranch_execz .LBB31_51
; %bb.59:                               ;   in Loop: Header=BB31_55 Depth=3
	v_add_nc_u32_e32 v20, 2, v21
	s_mov_b32 s38, -1
	s_mov_b32 s37, -1
	s_mov_b32 s36, exec_lo
	s_delay_alu instid0(VALU_DEP_1) | instskip(NEXT) | instid1(VALU_DEP_1)
	v_and_b32_e32 v20, 0x1ff, v20
	v_lshl_add_u32 v22, v20, 2, v16
	ds_load_b32 v22, v22
	s_wait_dscnt 0x0
	v_cmpx_ne_u32_e32 -1, v22
	s_cbranch_execz .LBB31_50
; %bb.60:                               ;   in Loop: Header=BB31_55 Depth=3
	s_mov_b32 s39, 0
	s_mov_b32 s37, exec_lo
	v_cmpx_ne_u32_e64 v22, v18
	s_cbranch_execz .LBB31_49
; %bb.61:                               ;   in Loop: Header=BB31_55 Depth=3
	v_add_nc_u32_e32 v20, 3, v21
	s_mov_b32 s40, -1
	s_mov_b32 s39, -1
	s_mov_b32 s38, exec_lo
	s_delay_alu instid0(VALU_DEP_1) | instskip(NEXT) | instid1(VALU_DEP_1)
	v_and_b32_e32 v20, 0x1ff, v20
	v_lshl_add_u32 v21, v20, 2, v16
	ds_load_b32 v22, v21
                                        ; implicit-def: $vgpr21
	s_wait_dscnt 0x0
	v_cmpx_ne_u32_e32 -1, v22
	s_cbranch_execz .LBB31_48
; %bb.62:                               ;   in Loop: Header=BB31_55 Depth=3
	s_mov_b32 s39, 0
	s_mov_b32 s41, exec_lo
                                        ; implicit-def: $vgpr21
	v_cmpx_ne_u32_e64 v22, v18
	s_cbranch_execz .LBB31_47
; %bb.63:                               ;   in Loop: Header=BB31_55 Depth=3
	v_dual_add_nc_u32 v19, -4, v19 :: v_dual_add_nc_u32 v21, 1, v20
	s_mov_b32 s39, exec_lo
	s_delay_alu instid0(VALU_DEP_1)
	v_cmp_eq_u32_e32 vcc_lo, 0, v19
	s_or_not1_b32 s40, vcc_lo, exec_lo
	s_branch .LBB31_47
.LBB31_64:                              ;   in Loop: Header=BB31_46 Depth=2
	s_or_b32 exec_lo, exec_lo, s25
	s_xor_b32 s25, s26, -1
	s_delay_alu instid0(SALU_CYCLE_1) | instskip(NEXT) | instid1(SALU_CYCLE_1)
	s_and_saveexec_b32 s26, s25
	s_xor_b32 s25, exec_lo, s26
	s_cbranch_execz .LBB31_45
; %bb.65:                               ;   in Loop: Header=BB31_46 Depth=2
	v_lshl_add_u32 v18, v20, 2, v7
	ds_load_b32 v24, v18
	v_lshl_add_u64 v[18:19], v[8:9], 3, s[8:9]
	global_load_b64 v[20:21], v[18:19], off
	s_wait_dscnt 0x0
	global_load_b64 v[22:23], v24, s[8:9] scale_offset
	s_wait_loadcnt 0x0
	s_wait_xcnt 0x1
	v_pk_fma_f32 v[18:19], v[10:11], v[20:21], v[22:23] op_sel_hi:[1,0,1] neg_lo:[1,0,0] neg_hi:[1,0,0]
	s_delay_alu instid0(VALU_DEP_1)
	v_pk_fma_f32 v[18:19], v[12:13], v[20:21], v[18:19] op_sel:[0,1,0]
	global_store_b64 v24, v[18:19], s[8:9] scale_offset
	s_branch .LBB31_45
.LBB31_66:
	s_or_b32 exec_lo, exec_lo, s14
	s_delay_alu instid0(SALU_CYCLE_1)
	s_mov_b32 s4, exec_lo
	s_wait_storecnt 0x0
	v_cmpx_lt_i32_e32 -1, v6
	s_cbranch_execz .LBB31_88
; %bb.67:
	global_load_b64 v[0:1], v6, s[8:9] scale_offset
	v_mov_b32_e32 v7, 0
                                        ; implicit-def: $vgpr10
	s_mov_b32 s2, exec_lo
	s_wait_loadcnt 0x0
	v_cmp_gt_f32_e32 vcc_lo, 0, v0
	v_cndmask_b32_e64 v8, v0, -v0, vcc_lo
	v_cmp_gt_f32_e32 vcc_lo, 0, v1
	v_cndmask_b32_e64 v9, v1, -v1, vcc_lo
	s_delay_alu instid0(VALU_DEP_1)
	v_cmpx_ngt_f32_e32 v8, v9
	s_xor_b32 s5, exec_lo, s2
	s_cbranch_execz .LBB31_71
; %bb.68:
	v_mov_b32_e32 v10, 0
	s_mov_b32 s6, exec_lo
	v_cmpx_neq_f32_e32 0, v1
	s_cbranch_execz .LBB31_70
; %bb.69:
	v_div_scale_f32 v10, null, v9, v9, v8
	v_div_scale_f32 v13, vcc_lo, v8, v9, v8
	s_delay_alu instid0(VALU_DEP_2) | instskip(SKIP_1) | instid1(TRANS32_DEP_1)
	v_rcp_f32_e32 v11, v10
	v_nop
	v_fma_f32 v12, -v10, v11, 1.0
	s_delay_alu instid0(VALU_DEP_1) | instskip(NEXT) | instid1(VALU_DEP_1)
	v_fmac_f32_e32 v11, v12, v11
	v_mul_f32_e32 v12, v13, v11
	s_delay_alu instid0(VALU_DEP_1) | instskip(NEXT) | instid1(VALU_DEP_1)
	v_fma_f32 v16, -v10, v12, v13
	v_fmac_f32_e32 v12, v16, v11
	s_delay_alu instid0(VALU_DEP_1) | instskip(NEXT) | instid1(VALU_DEP_1)
	v_fma_f32 v10, -v10, v12, v13
	v_div_fmas_f32 v10, v10, v11, v12
	s_delay_alu instid0(VALU_DEP_1) | instskip(NEXT) | instid1(VALU_DEP_1)
	v_div_fixup_f32 v8, v10, v9, v8
	v_fma_f32 v8, v8, v8, 1.0
	s_delay_alu instid0(VALU_DEP_1) | instskip(SKIP_1) | instid1(VALU_DEP_2)
	v_mul_f32_e32 v10, 0x4f800000, v8
	v_cmp_gt_f32_e32 vcc_lo, 0xf800000, v8
	v_cndmask_b32_e32 v8, v8, v10, vcc_lo
	s_delay_alu instid0(VALU_DEP_1) | instskip(SKIP_1) | instid1(TRANS32_DEP_1)
	v_sqrt_f32_e32 v10, v8
	v_nop
	v_dual_add_nc_u32 v11, -1, v10 :: v_dual_add_nc_u32 v12, 1, v10
	s_delay_alu instid0(VALU_DEP_1) | instskip(NEXT) | instid1(VALU_DEP_1)
	v_fma_f32 v13, -v11, v10, v8
	v_cmp_ge_f32_e64 s2, 0, v13
	s_delay_alu instid0(VALU_DEP_1) | instskip(NEXT) | instid1(VALU_DEP_1)
	v_dual_fma_f32 v16, -v12, v10, v8 :: v_dual_cndmask_b32 v10, v10, v11, s2
	v_cmp_lt_f32_e64 s2, 0, v16
	s_delay_alu instid0(VALU_DEP_1) | instskip(NEXT) | instid1(VALU_DEP_1)
	v_cndmask_b32_e64 v10, v10, v12, s2
	v_mul_f32_e32 v11, 0x37800000, v10
	s_delay_alu instid0(VALU_DEP_1) | instskip(SKIP_1) | instid1(VALU_DEP_2)
	v_cndmask_b32_e32 v10, v10, v11, vcc_lo
	v_cmp_class_f32_e64 vcc_lo, v8, 0x260
	v_cndmask_b32_e32 v8, v10, v8, vcc_lo
	s_delay_alu instid0(VALU_DEP_1)
	v_mul_f32_e32 v10, v9, v8
.LBB31_70:
	s_or_b32 exec_lo, exec_lo, s6
                                        ; implicit-def: $vgpr8
                                        ; implicit-def: $vgpr9
.LBB31_71:
	s_and_not1_saveexec_b32 s5, s5
	s_cbranch_execz .LBB31_73
; %bb.72:
	v_div_scale_f32 v10, null, v8, v8, v9
	v_div_scale_f32 v13, vcc_lo, v9, v8, v9
	s_delay_alu instid0(VALU_DEP_2) | instskip(SKIP_1) | instid1(TRANS32_DEP_1)
	v_rcp_f32_e32 v11, v10
	v_nop
	v_fma_f32 v12, -v10, v11, 1.0
	s_delay_alu instid0(VALU_DEP_1) | instskip(NEXT) | instid1(VALU_DEP_1)
	v_fmac_f32_e32 v11, v12, v11
	v_mul_f32_e32 v12, v13, v11
	s_delay_alu instid0(VALU_DEP_1) | instskip(NEXT) | instid1(VALU_DEP_1)
	v_fma_f32 v16, -v10, v12, v13
	v_fmac_f32_e32 v12, v16, v11
	s_delay_alu instid0(VALU_DEP_1) | instskip(NEXT) | instid1(VALU_DEP_1)
	v_fma_f32 v10, -v10, v12, v13
	v_div_fmas_f32 v10, v10, v11, v12
	s_delay_alu instid0(VALU_DEP_1) | instskip(NEXT) | instid1(VALU_DEP_1)
	v_div_fixup_f32 v9, v10, v8, v9
	v_fma_f32 v9, v9, v9, 1.0
	s_delay_alu instid0(VALU_DEP_1) | instskip(SKIP_1) | instid1(VALU_DEP_2)
	v_mul_f32_e32 v10, 0x4f800000, v9
	v_cmp_gt_f32_e32 vcc_lo, 0xf800000, v9
	v_cndmask_b32_e32 v9, v9, v10, vcc_lo
	s_delay_alu instid0(VALU_DEP_1) | instskip(SKIP_1) | instid1(TRANS32_DEP_1)
	v_sqrt_f32_e32 v10, v9
	v_nop
	v_dual_add_nc_u32 v11, -1, v10 :: v_dual_add_nc_u32 v12, 1, v10
	s_delay_alu instid0(VALU_DEP_1) | instskip(NEXT) | instid1(VALU_DEP_1)
	v_fma_f32 v13, -v11, v10, v9
	v_cmp_ge_f32_e64 s2, 0, v13
	s_delay_alu instid0(VALU_DEP_1) | instskip(NEXT) | instid1(VALU_DEP_1)
	v_dual_fma_f32 v16, -v12, v10, v9 :: v_dual_cndmask_b32 v10, v10, v11, s2
	v_cmp_lt_f32_e64 s2, 0, v16
	s_delay_alu instid0(VALU_DEP_1) | instskip(NEXT) | instid1(VALU_DEP_1)
	v_cndmask_b32_e64 v10, v10, v12, s2
	v_mul_f32_e32 v11, 0x37800000, v10
	s_delay_alu instid0(VALU_DEP_1) | instskip(SKIP_1) | instid1(VALU_DEP_2)
	v_cndmask_b32_e32 v10, v10, v11, vcc_lo
	v_cmp_class_f32_e64 vcc_lo, v9, 0x260
	v_cndmask_b32_e32 v9, v10, v9, vcc_lo
	s_delay_alu instid0(VALU_DEP_1)
	v_mul_f32_e32 v10, v8, v9
.LBB31_73:
	s_or_b32 exec_lo, exec_lo, s5
	s_delay_alu instid0(VALU_DEP_1)
	v_cvt_f64_f32_e32 v[8:9], v10
	v_cmp_ne_u32_e32 vcc_lo, 1, v15
	v_cmp_eq_u32_e64 s2, 0, v14
	s_mov_b32 s5, -1
	s_cbranch_vccnz .LBB31_77
; %bb.74:
	v_cvt_f64_f32_e32 v[10:11], s29
	s_cmp_eq_u64 s[20:21], 8
	s_cselect_b32 vcc_lo, -1, 0
	s_delay_alu instid0(VALU_DEP_1) | instskip(NEXT) | instid1(VALU_DEP_1)
	v_dual_cndmask_b32 v5, v11, v5 :: v_dual_cndmask_b32 v4, v10, v4
	v_cmp_ge_f64_e32 vcc_lo, v[4:5], v[8:9]
	s_and_b32 s6, s2, vcc_lo
	s_delay_alu instid0(SALU_CYCLE_1)
	s_and_saveexec_b32 s5, s6
	s_cbranch_execz .LBB31_76
; %bb.75:
	v_lshl_add_u64 v[4:5], v[6:7], 3, s[8:9]
	v_dual_mov_b32 v6, s3 :: v_dual_mov_b32 v7, s22
	global_store_b64 v[4:5], v[6:7], off
	global_wb scope:SCOPE_DEV
	s_wait_storecnt 0x0
	global_inv scope:SCOPE_DEV
.LBB31_76:
	s_wait_xcnt 0x0
	s_or_b32 exec_lo, exec_lo, s5
	s_mov_b32 s5, 0
.LBB31_77:
	s_delay_alu instid0(SALU_CYCLE_1)
	s_and_not1_b32 vcc_lo, exec_lo, s5
	s_cbranch_vccnz .LBB31_88
; %bb.78:
	s_load_b64 s[0:1], s[0:1], 0x48
	v_add_nc_u32_e32 v4, s28, v2
	s_wait_kmcnt 0x0
	v_cmp_ge_f64_e32 vcc_lo, s[0:1], v[8:9]
	s_and_b32 s1, s2, vcc_lo
	s_delay_alu instid0(SALU_CYCLE_1)
	s_and_saveexec_b32 s0, s1
	s_cbranch_execz .LBB31_83
; %bb.79:
	s_mov_b32 s3, exec_lo
	s_brev_b32 s1, -2
.LBB31_80:                              ; =>This Inner Loop Header: Depth=1
	s_ctz_i32_b32 s5, s3
	s_delay_alu instid0(SALU_CYCLE_1) | instskip(SKIP_1) | instid1(SALU_CYCLE_1)
	v_readlane_b32 s6, v4, s5
	s_lshl_b32 s5, 1, s5
	s_and_not1_b32 s3, s3, s5
	s_min_i32 s1, s1, s6
	s_cmp_lg_u32 s3, 0
	s_cbranch_scc1 .LBB31_80
; %bb.81:
	v_mbcnt_lo_u32_b32 v5, exec_lo, 0
	s_mov_b32 s3, exec_lo
	s_delay_alu instid0(VALU_DEP_1)
	v_cmpx_eq_u32_e32 0, v5
	s_xor_b32 s3, exec_lo, s3
	s_cbranch_execz .LBB31_83
; %bb.82:
	v_dual_mov_b32 v5, 0 :: v_dual_mov_b32 v6, s1
	global_atomic_min_i32 v5, v6, s[18:19] scope:SCOPE_DEV
.LBB31_83:
	s_wait_xcnt 0x0
	s_or_b32 exec_lo, exec_lo, s0
	v_cmp_eq_f32_e32 vcc_lo, 0, v0
	v_cmp_eq_f32_e64 s0, 0, v1
	s_and_b32 s0, vcc_lo, s0
	s_delay_alu instid0(SALU_CYCLE_1) | instskip(NEXT) | instid1(SALU_CYCLE_1)
	s_and_b32 s0, s2, s0
	s_and_b32 exec_lo, exec_lo, s0
	s_cbranch_execz .LBB31_88
; %bb.84:
	s_mov_b32 s1, exec_lo
	s_brev_b32 s0, -2
.LBB31_85:                              ; =>This Inner Loop Header: Depth=1
	s_ctz_i32_b32 s2, s1
	s_delay_alu instid0(SALU_CYCLE_1) | instskip(SKIP_1) | instid1(SALU_CYCLE_1)
	v_readlane_b32 s3, v4, s2
	s_lshl_b32 s2, 1, s2
	s_and_not1_b32 s1, s1, s2
	s_min_i32 s0, s0, s3
	s_cmp_lg_u32 s1, 0
	s_cbranch_scc1 .LBB31_85
; %bb.86:
	v_mbcnt_lo_u32_b32 v0, exec_lo, 0
	s_mov_b32 s1, exec_lo
	s_delay_alu instid0(VALU_DEP_1)
	v_cmpx_eq_u32_e32 0, v0
	s_xor_b32 s1, exec_lo, s1
	s_cbranch_execz .LBB31_88
; %bb.87:
	v_dual_mov_b32 v0, 0 :: v_dual_mov_b32 v1, s0
	global_atomic_min_i32 v0, v1, s[16:17] scope:SCOPE_DEV
.LBB31_88:
	s_wait_xcnt 0x0
	s_or_b32 exec_lo, exec_lo, s4
	v_cmp_eq_u32_e32 vcc_lo, 0, v14
	global_wb scope:SCOPE_DEV
	s_wait_loadcnt 0x0
	s_wait_storecnt 0x0
	global_inv scope:SCOPE_DEV
	s_and_b32 exec_lo, exec_lo, vcc_lo
	s_cbranch_execz .LBB31_90
; %bb.89:
	v_lshl_add_u64 v[0:1], v[2:3], 2, s[12:13]
	v_mov_b32_e32 v2, 1
	global_wb scope:SCOPE_DEV
	s_wait_loadcnt 0x0
	s_wait_storecnt 0x0
	global_store_b32 v[0:1], v2, off scope:SCOPE_DEV
.LBB31_90:
	s_endpgm
	.section	.rodata,"a",@progbits
	.p2align	6, 0x0
	.amdhsa_kernel _ZN9rocsparseL12csrilu0_hashILj256ELj32ELj16E21rocsparse_complex_numIfEEEviPKiS4_PT2_S4_PiS4_S7_S7_d21rocsparse_index_base_imNS_24const_host_device_scalarIfEENS9_IdEENS9_IS5_EEb
		.amdhsa_group_segment_fixed_size 32768
		.amdhsa_private_segment_fixed_size 0
		.amdhsa_kernarg_size 124
		.amdhsa_user_sgpr_count 2
		.amdhsa_user_sgpr_dispatch_ptr 0
		.amdhsa_user_sgpr_queue_ptr 0
		.amdhsa_user_sgpr_kernarg_segment_ptr 1
		.amdhsa_user_sgpr_dispatch_id 0
		.amdhsa_user_sgpr_kernarg_preload_length 0
		.amdhsa_user_sgpr_kernarg_preload_offset 0
		.amdhsa_user_sgpr_private_segment_size 0
		.amdhsa_wavefront_size32 1
		.amdhsa_uses_dynamic_stack 0
		.amdhsa_enable_private_segment 0
		.amdhsa_system_sgpr_workgroup_id_x 1
		.amdhsa_system_sgpr_workgroup_id_y 0
		.amdhsa_system_sgpr_workgroup_id_z 0
		.amdhsa_system_sgpr_workgroup_info 0
		.amdhsa_system_vgpr_workitem_id 0
		.amdhsa_next_free_vgpr 25
		.amdhsa_next_free_sgpr 42
		.amdhsa_named_barrier_count 0
		.amdhsa_reserve_vcc 1
		.amdhsa_float_round_mode_32 0
		.amdhsa_float_round_mode_16_64 0
		.amdhsa_float_denorm_mode_32 3
		.amdhsa_float_denorm_mode_16_64 3
		.amdhsa_fp16_overflow 0
		.amdhsa_memory_ordered 1
		.amdhsa_forward_progress 1
		.amdhsa_inst_pref_size 28
		.amdhsa_round_robin_scheduling 0
		.amdhsa_exception_fp_ieee_invalid_op 0
		.amdhsa_exception_fp_denorm_src 0
		.amdhsa_exception_fp_ieee_div_zero 0
		.amdhsa_exception_fp_ieee_overflow 0
		.amdhsa_exception_fp_ieee_underflow 0
		.amdhsa_exception_fp_ieee_inexact 0
		.amdhsa_exception_int_div_zero 0
	.end_amdhsa_kernel
	.section	.text._ZN9rocsparseL12csrilu0_hashILj256ELj32ELj16E21rocsparse_complex_numIfEEEviPKiS4_PT2_S4_PiS4_S7_S7_d21rocsparse_index_base_imNS_24const_host_device_scalarIfEENS9_IdEENS9_IS5_EEb,"axG",@progbits,_ZN9rocsparseL12csrilu0_hashILj256ELj32ELj16E21rocsparse_complex_numIfEEEviPKiS4_PT2_S4_PiS4_S7_S7_d21rocsparse_index_base_imNS_24const_host_device_scalarIfEENS9_IdEENS9_IS5_EEb,comdat
.Lfunc_end31:
	.size	_ZN9rocsparseL12csrilu0_hashILj256ELj32ELj16E21rocsparse_complex_numIfEEEviPKiS4_PT2_S4_PiS4_S7_S7_d21rocsparse_index_base_imNS_24const_host_device_scalarIfEENS9_IdEENS9_IS5_EEb, .Lfunc_end31-_ZN9rocsparseL12csrilu0_hashILj256ELj32ELj16E21rocsparse_complex_numIfEEEviPKiS4_PT2_S4_PiS4_S7_S7_d21rocsparse_index_base_imNS_24const_host_device_scalarIfEENS9_IdEENS9_IS5_EEb
                                        ; -- End function
	.set _ZN9rocsparseL12csrilu0_hashILj256ELj32ELj16E21rocsparse_complex_numIfEEEviPKiS4_PT2_S4_PiS4_S7_S7_d21rocsparse_index_base_imNS_24const_host_device_scalarIfEENS9_IdEENS9_IS5_EEb.num_vgpr, 25
	.set _ZN9rocsparseL12csrilu0_hashILj256ELj32ELj16E21rocsparse_complex_numIfEEEviPKiS4_PT2_S4_PiS4_S7_S7_d21rocsparse_index_base_imNS_24const_host_device_scalarIfEENS9_IdEENS9_IS5_EEb.num_agpr, 0
	.set _ZN9rocsparseL12csrilu0_hashILj256ELj32ELj16E21rocsparse_complex_numIfEEEviPKiS4_PT2_S4_PiS4_S7_S7_d21rocsparse_index_base_imNS_24const_host_device_scalarIfEENS9_IdEENS9_IS5_EEb.numbered_sgpr, 42
	.set _ZN9rocsparseL12csrilu0_hashILj256ELj32ELj16E21rocsparse_complex_numIfEEEviPKiS4_PT2_S4_PiS4_S7_S7_d21rocsparse_index_base_imNS_24const_host_device_scalarIfEENS9_IdEENS9_IS5_EEb.num_named_barrier, 0
	.set _ZN9rocsparseL12csrilu0_hashILj256ELj32ELj16E21rocsparse_complex_numIfEEEviPKiS4_PT2_S4_PiS4_S7_S7_d21rocsparse_index_base_imNS_24const_host_device_scalarIfEENS9_IdEENS9_IS5_EEb.private_seg_size, 0
	.set _ZN9rocsparseL12csrilu0_hashILj256ELj32ELj16E21rocsparse_complex_numIfEEEviPKiS4_PT2_S4_PiS4_S7_S7_d21rocsparse_index_base_imNS_24const_host_device_scalarIfEENS9_IdEENS9_IS5_EEb.uses_vcc, 1
	.set _ZN9rocsparseL12csrilu0_hashILj256ELj32ELj16E21rocsparse_complex_numIfEEEviPKiS4_PT2_S4_PiS4_S7_S7_d21rocsparse_index_base_imNS_24const_host_device_scalarIfEENS9_IdEENS9_IS5_EEb.uses_flat_scratch, 0
	.set _ZN9rocsparseL12csrilu0_hashILj256ELj32ELj16E21rocsparse_complex_numIfEEEviPKiS4_PT2_S4_PiS4_S7_S7_d21rocsparse_index_base_imNS_24const_host_device_scalarIfEENS9_IdEENS9_IS5_EEb.has_dyn_sized_stack, 0
	.set _ZN9rocsparseL12csrilu0_hashILj256ELj32ELj16E21rocsparse_complex_numIfEEEviPKiS4_PT2_S4_PiS4_S7_S7_d21rocsparse_index_base_imNS_24const_host_device_scalarIfEENS9_IdEENS9_IS5_EEb.has_recursion, 0
	.set _ZN9rocsparseL12csrilu0_hashILj256ELj32ELj16E21rocsparse_complex_numIfEEEviPKiS4_PT2_S4_PiS4_S7_S7_d21rocsparse_index_base_imNS_24const_host_device_scalarIfEENS9_IdEENS9_IS5_EEb.has_indirect_call, 0
	.section	.AMDGPU.csdata,"",@progbits
; Kernel info:
; codeLenInByte = 3576
; TotalNumSgprs: 44
; NumVgprs: 25
; ScratchSize: 0
; MemoryBound: 0
; FloatMode: 240
; IeeeMode: 1
; LDSByteSize: 32768 bytes/workgroup (compile time only)
; SGPRBlocks: 0
; VGPRBlocks: 1
; NumSGPRsForWavesPerEU: 44
; NumVGPRsForWavesPerEU: 25
; NamedBarCnt: 0
; Occupancy: 16
; WaveLimiterHint : 1
; COMPUTE_PGM_RSRC2:SCRATCH_EN: 0
; COMPUTE_PGM_RSRC2:USER_SGPR: 2
; COMPUTE_PGM_RSRC2:TRAP_HANDLER: 0
; COMPUTE_PGM_RSRC2:TGID_X_EN: 1
; COMPUTE_PGM_RSRC2:TGID_Y_EN: 0
; COMPUTE_PGM_RSRC2:TGID_Z_EN: 0
; COMPUTE_PGM_RSRC2:TIDIG_COMP_CNT: 0
	.section	.text._ZN9rocsparseL17csrilu0_binsearchILj256ELj32ELb0E21rocsparse_complex_numIfEEEviPKiS4_PT2_S4_PiS4_S7_S7_d21rocsparse_index_base_imNS_24const_host_device_scalarIfEENS9_IdEENS9_IS5_EEb,"axG",@progbits,_ZN9rocsparseL17csrilu0_binsearchILj256ELj32ELb0E21rocsparse_complex_numIfEEEviPKiS4_PT2_S4_PiS4_S7_S7_d21rocsparse_index_base_imNS_24const_host_device_scalarIfEENS9_IdEENS9_IS5_EEb,comdat
	.globl	_ZN9rocsparseL17csrilu0_binsearchILj256ELj32ELb0E21rocsparse_complex_numIfEEEviPKiS4_PT2_S4_PiS4_S7_S7_d21rocsparse_index_base_imNS_24const_host_device_scalarIfEENS9_IdEENS9_IS5_EEb ; -- Begin function _ZN9rocsparseL17csrilu0_binsearchILj256ELj32ELb0E21rocsparse_complex_numIfEEEviPKiS4_PT2_S4_PiS4_S7_S7_d21rocsparse_index_base_imNS_24const_host_device_scalarIfEENS9_IdEENS9_IS5_EEb
	.p2align	8
	.type	_ZN9rocsparseL17csrilu0_binsearchILj256ELj32ELb0E21rocsparse_complex_numIfEEEviPKiS4_PT2_S4_PiS4_S7_S7_d21rocsparse_index_base_imNS_24const_host_device_scalarIfEENS9_IdEENS9_IS5_EEb,@function
_ZN9rocsparseL17csrilu0_binsearchILj256ELj32ELb0E21rocsparse_complex_numIfEEEviPKiS4_PT2_S4_PiS4_S7_S7_d21rocsparse_index_base_imNS_24const_host_device_scalarIfEENS9_IdEENS9_IS5_EEb: ; @_ZN9rocsparseL17csrilu0_binsearchILj256ELj32ELb0E21rocsparse_complex_numIfEEEviPKiS4_PT2_S4_PiS4_S7_S7_d21rocsparse_index_base_imNS_24const_host_device_scalarIfEENS9_IdEENS9_IS5_EEb
; %bb.0:
	s_clause 0x2
	s_load_b32 s2, s[0:1], 0x78
	s_load_b64 s[28:29], s[0:1], 0x50
	s_load_b256 s[20:27], s[0:1], 0x58
	s_wait_kmcnt 0x0
	s_bitcmp1_b32 s2, 0
	s_cselect_b32 s4, -1, 0
	s_cmp_eq_u32 s29, 0
	s_cselect_b32 s2, -1, 0
	s_cmp_lg_u32 s29, 0
	s_cselect_b32 s5, -1, 0
	s_or_b32 s7, s2, s4
	s_delay_alu instid0(SALU_CYCLE_1)
	s_xor_b32 s6, s7, -1
	s_and_b32 s2, s2, exec_lo
	s_cselect_b32 s3, 0, s25
	s_cselect_b32 s2, 0, s24
	;; [unrolled: 1-line block ×3, first 2 shown]
	s_and_b32 vcc_lo, exec_lo, s7
	s_cbranch_vccnz .LBB32_2
; %bb.1:
	s_load_b32 s29, s[22:23], 0x0
	s_mov_b64 s[2:3], s[24:25]
.LBB32_2:
	s_delay_alu instid0(SALU_CYCLE_1)
	v_mov_b64_e32 v[4:5], s[2:3]
	s_and_not1_b32 vcc_lo, exec_lo, s6
	s_cbranch_vccnz .LBB32_4
; %bb.3:
	v_mov_b32_e32 v1, 0
	flat_load_b64 v[4:5], v1, s[24:25]
.LBB32_4:
	v_cndmask_b32_e64 v15, 0, 1, s5
	s_mov_b32 s3, 0
	s_and_not1_b32 vcc_lo, exec_lo, s5
	s_wait_xcnt 0x0
	s_mov_b32 s22, 0
	s_cbranch_vccnz .LBB32_10
; %bb.5:
	s_xor_b32 s2, s4, -1
	s_mov_b32 s3, s26
	v_cndmask_b32_e64 v1, 0, 1, s2
	s_and_not1_b32 vcc_lo, exec_lo, s2
	s_cbranch_vccnz .LBB32_7
; %bb.6:
	s_load_b32 s3, s[26:27], 0x0
.LBB32_7:
	s_delay_alu instid0(VALU_DEP_1)
	v_cmp_ne_u32_e32 vcc_lo, 1, v1
	s_cbranch_vccnz .LBB32_9
; %bb.8:
	s_wait_xcnt 0x0
	s_load_b32 s27, s[26:27], 0x4
.LBB32_9:
	s_wait_kmcnt 0x0
	s_mov_b32 s22, s27
.LBB32_10:
	s_load_b32 s2, s[0:1], 0x0
	s_bfe_u32 s4, ttmp6, 0x4000c
	s_and_b32 s5, ttmp6, 15
	s_add_co_i32 s4, s4, 1
	s_getreg_b32 s6, hwreg(HW_REG_IB_STS2, 6, 4)
	s_mul_i32 s4, ttmp9, s4
	v_lshrrev_b32_e32 v1, 5, v0
	s_add_co_i32 s5, s5, s4
	s_cmp_eq_u32 s6, 0
	s_cselect_b32 s4, ttmp9, s5
	s_delay_alu instid0(SALU_CYCLE_1) | instskip(NEXT) | instid1(SALU_CYCLE_1)
	s_lshl_b32 s4, s4, 3
	v_and_or_b32 v1, 0x7fffff8, s4, v1
	s_wait_kmcnt 0x0
	s_delay_alu instid0(VALU_DEP_1)
	v_cmp_gt_i32_e32 vcc_lo, s2, v1
	s_and_saveexec_b32 s2, vcc_lo
	s_cbranch_execz .LBB32_52
; %bb.11:
	s_load_b512 s[4:19], s[0:1], 0x8
	s_wait_kmcnt 0x0
	global_load_b32 v2, v1, s[14:15] scale_offset
	v_and_b32_e32 v14, 31, v0
	s_wait_xcnt 0x0
	s_mov_b32 s14, exec_lo
	s_wait_loadcnt 0x0
	s_clause 0x1
	global_load_b32 v1, v2, s[4:5] scale_offset
	global_load_b32 v6, v2, s[10:11] scale_offset
	v_ashrrev_i32_e32 v3, 31, v2
	s_wait_loadcnt 0x1
	v_subrev_nc_u32_e32 v8, s28, v1
	s_wait_loadcnt 0x0
	s_delay_alu instid0(VALU_DEP_1)
	v_cmpx_lt_i32_e64 v8, v6
	s_cbranch_execz .LBB32_28
; %bb.12:
	v_lshl_add_u64 v[0:1], v[2:3], 2, s[4:5]
	v_add_nc_u32_e32 v7, 1, v14
	s_mov_b32 s15, 0
	global_load_b32 v0, v[0:1], off offset:4
	s_wait_loadcnt 0x0
	v_xad_u32 v16, s28, -1, v0
	s_branch .LBB32_15
.LBB32_13:                              ;   in Loop: Header=BB32_15 Depth=1
	s_or_b32 exec_lo, exec_lo, s23
	v_cmp_ge_i32_e32 vcc_lo, v8, v6
	s_or_not1_b32 s23, vcc_lo, exec_lo
.LBB32_14:                              ;   in Loop: Header=BB32_15 Depth=1
	s_or_b32 exec_lo, exec_lo, s2
	s_delay_alu instid0(SALU_CYCLE_1) | instskip(NEXT) | instid1(SALU_CYCLE_1)
	s_and_b32 s2, exec_lo, s23
	s_or_b32 s15, s2, s15
	s_delay_alu instid0(SALU_CYCLE_1)
	s_and_not1_b32 exec_lo, exec_lo, s15
	s_cbranch_execz .LBB32_28
.LBB32_15:                              ; =>This Loop Header: Depth=1
                                        ;     Child Loop BB32_17 Depth 2
                                        ;     Child Loop BB32_22 Depth 2
                                        ;       Child Loop BB32_24 Depth 3
	s_clause 0x1
	global_load_b32 v9, v8, s[6:7] scale_offset
	global_load_b64 v[0:1], v8, s[8:9] scale_offset
	s_mov_b32 s2, exec_lo
	s_wait_loadcnt 0x1
	v_subrev_nc_u32_e32 v10, s28, v9
	s_clause 0x2
	global_load_b32 v18, v10, s[4:5] offset:4 scale_offset
	global_load_b32 v17, v10, s[10:11] scale_offset
	global_load_b32 v9, v10, s[12:13] scale_offset scope:SCOPE_DEV
	s_wait_loadcnt 0x0
	s_wait_xcnt 0x0
	v_cmpx_eq_u32_e32 0, v9
	s_cbranch_execz .LBB32_18
; %bb.16:                               ;   in Loop: Header=BB32_15 Depth=1
	v_ashrrev_i32_e32 v11, 31, v10
	s_mov_b32 s23, 0
	s_delay_alu instid0(VALU_DEP_1)
	v_lshl_add_u64 v[10:11], v[10:11], 2, s[12:13]
.LBB32_17:                              ;   Parent Loop BB32_15 Depth=1
                                        ; =>  This Inner Loop Header: Depth=2
	global_load_b32 v9, v[10:11], off scope:SCOPE_DEV
	s_wait_loadcnt 0x0
	v_cmp_ne_u32_e32 vcc_lo, 0, v9
	s_or_b32 s23, vcc_lo, s23
	s_wait_xcnt 0x0
	s_and_not1_b32 exec_lo, exec_lo, s23
	s_cbranch_execnz .LBB32_17
.LBB32_18:                              ;   in Loop: Header=BB32_15 Depth=1
	s_or_b32 exec_lo, exec_lo, s2
	v_cmp_eq_u32_e32 vcc_lo, -1, v17
	v_ashrrev_i32_e32 v9, 31, v8
	s_wait_dscnt 0x0
	global_inv scope:SCOPE_DEV
	s_mov_b32 s23, -1
	v_lshl_add_u64 v[12:13], v[8:9], 3, s[8:9]
	v_subrev_nc_u32_e32 v9, s28, v18
	s_delay_alu instid0(VALU_DEP_1) | instskip(NEXT) | instid1(VALU_DEP_1)
	v_add_nc_u32_e32 v10, -1, v9
	v_cndmask_b32_e32 v17, v17, v10, vcc_lo
	global_load_b64 v[10:11], v17, s[8:9] scale_offset
	s_wait_loadcnt 0x0
	v_cmp_neq_f32_e32 vcc_lo, 0, v10
	v_cmp_neq_f32_e64 s2, 0, v11
	s_or_b32 s2, vcc_lo, s2
	s_wait_xcnt 0x0
	s_and_saveexec_b32 s24, s2
	s_delay_alu instid0(SALU_CYCLE_1)
	s_xor_b32 s2, exec_lo, s24
	s_cbranch_execz .LBB32_14
; %bb.19:                               ;   in Loop: Header=BB32_15 Depth=1
	v_mul_f32_e32 v20, v11, v11
	s_mov_b32 s23, exec_lo
	s_delay_alu instid0(VALU_DEP_1) | instskip(NEXT) | instid1(VALU_DEP_1)
	v_dual_add_nc_u32 v8, 1, v8 :: v_dual_fmac_f32 v20, v10, v10
	v_div_scale_f32 v19, null, v20, v20, 1.0
	v_div_scale_f32 v22, vcc_lo, 1.0, v20, 1.0
	s_delay_alu instid0(VALU_DEP_2) | instskip(SKIP_1) | instid1(TRANS32_DEP_1)
	v_rcp_f32_e32 v21, v19
	v_nop
	v_fma_f32 v18, -v19, v21, 1.0
	s_delay_alu instid0(VALU_DEP_1) | instskip(NEXT) | instid1(VALU_DEP_1)
	v_fmac_f32_e32 v21, v18, v21
	v_mul_f32_e32 v23, v22, v21
	s_delay_alu instid0(VALU_DEP_1) | instskip(NEXT) | instid1(VALU_DEP_1)
	v_fma_f32 v18, -v19, v23, v22
	v_dual_fmac_f32 v23, v18, v21 :: v_dual_mov_b32 v18, v11
	s_delay_alu instid0(VALU_DEP_1) | instskip(NEXT) | instid1(VALU_DEP_2)
	v_fma_f32 v11, -v19, v23, v22
	v_pk_mul_f32 v[18:19], v[0:1], v[18:19] op_sel:[1,0] op_sel_hi:[0,0] neg_hi:[1,0]
	s_delay_alu instid0(VALU_DEP_2) | instskip(NEXT) | instid1(VALU_DEP_2)
	v_div_fmas_f32 v21, v11, v21, v23
	v_pk_fma_f32 v[10:11], v[0:1], v[10:11], v[18:19] op_sel_hi:[1,0,1]
	v_add_nc_u32_e32 v0, v7, v17
	s_delay_alu instid0(VALU_DEP_3) | instskip(NEXT) | instid1(VALU_DEP_1)
	v_div_fixup_f32 v18, v21, v20, 1.0
	v_pk_mul_f32 v[10:11], v[10:11], v[18:19] op_sel_hi:[1,0]
	global_store_b64 v[12:13], v[10:11], off
	s_wait_xcnt 0x0
	v_cmpx_lt_i32_e64 v0, v9
	s_cbranch_execz .LBB32_13
; %bb.20:                               ;   in Loop: Header=BB32_15 Depth=1
	v_xor_b32_e32 v13, 0x80000000, v10
	v_dual_mov_b32 v12, v11 :: v_dual_mov_b32 v17, v8
	s_mov_b32 s24, 0
	s_branch .LBB32_22
.LBB32_21:                              ;   in Loop: Header=BB32_22 Depth=2
	s_wait_xcnt 0x0
	s_or_b32 exec_lo, exec_lo, s25
	v_add_nc_u32_e32 v0, 32, v0
	s_delay_alu instid0(VALU_DEP_1) | instskip(SKIP_1) | instid1(SALU_CYCLE_1)
	v_cmp_ge_i32_e32 vcc_lo, v0, v9
	s_or_b32 s24, vcc_lo, s24
	s_and_not1_b32 exec_lo, exec_lo, s24
	s_cbranch_execz .LBB32_13
.LBB32_22:                              ;   Parent Loop BB32_15 Depth=1
                                        ; =>  This Loop Header: Depth=2
                                        ;       Child Loop BB32_24 Depth 3
	s_delay_alu instid0(VALU_DEP_1) | instskip(SKIP_1) | instid1(VALU_DEP_1)
	v_add_nc_u32_e32 v1, v17, v16
	s_mov_b32 s25, exec_lo
	v_ashrrev_i32_e32 v1, 1, v1
	s_clause 0x1
	global_load_b32 v18, v0, s[6:7] scale_offset
	global_load_b32 v19, v1, s[6:7] scale_offset
	s_wait_xcnt 0x0
	v_cmpx_lt_i32_e64 v17, v16
	s_cbranch_execz .LBB32_26
; %bb.23:                               ;   in Loop: Header=BB32_22 Depth=2
	v_mov_b32_e32 v20, v16
	s_mov_b32 s26, 0
.LBB32_24:                              ;   Parent Loop BB32_15 Depth=1
                                        ;     Parent Loop BB32_22 Depth=2
                                        ; =>    This Inner Loop Header: Depth=3
	s_wait_loadcnt 0x0
	v_cmp_lt_i32_e32 vcc_lo, v19, v18
	s_delay_alu instid0(VALU_DEP_2) | instskip(NEXT) | instid1(VALU_DEP_1)
	v_dual_cndmask_b32 v20, v1, v20 :: v_dual_add_nc_u32 v21, 1, v1
	v_cndmask_b32_e32 v17, v17, v21, vcc_lo
	s_delay_alu instid0(VALU_DEP_1) | instskip(SKIP_1) | instid1(VALU_DEP_2)
	v_add_nc_u32_e32 v1, v20, v17
	v_cmp_ge_i32_e32 vcc_lo, v17, v20
	v_ashrrev_i32_e32 v1, 1, v1
	s_or_b32 s26, vcc_lo, s26
	global_load_b32 v19, v1, s[6:7] scale_offset
	s_wait_xcnt 0x0
	s_and_not1_b32 exec_lo, exec_lo, s26
	s_cbranch_execnz .LBB32_24
; %bb.25:                               ;   in Loop: Header=BB32_22 Depth=2
	s_or_b32 exec_lo, exec_lo, s26
.LBB32_26:                              ;   in Loop: Header=BB32_22 Depth=2
	s_delay_alu instid0(SALU_CYCLE_1)
	s_or_b32 exec_lo, exec_lo, s25
	v_ashrrev_i32_e32 v1, 31, v0
	s_mov_b32 s25, exec_lo
	s_wait_loadcnt 0x0
	v_cmpx_eq_u32_e64 v19, v18
	s_cbranch_execz .LBB32_21
; %bb.27:                               ;   in Loop: Header=BB32_22 Depth=2
	v_lshl_add_u64 v[18:19], v[0:1], 3, s[8:9]
	s_clause 0x1
	global_load_b64 v[20:21], v[18:19], off
	global_load_b64 v[22:23], v17, s[8:9] scale_offset
	s_wait_loadcnt 0x0
	s_wait_xcnt 0x1
	v_pk_fma_f32 v[18:19], v[10:11], v[20:21], v[22:23] op_sel_hi:[1,0,1] neg_lo:[1,0,0] neg_hi:[1,0,0]
	s_delay_alu instid0(VALU_DEP_1)
	v_pk_fma_f32 v[18:19], v[12:13], v[20:21], v[18:19] op_sel:[0,1,0]
	global_store_b64 v17, v[18:19], s[8:9] scale_offset
	s_branch .LBB32_21
.LBB32_28:
	s_or_b32 exec_lo, exec_lo, s14
	s_delay_alu instid0(SALU_CYCLE_1)
	s_mov_b32 s4, exec_lo
	s_wait_storecnt_dscnt 0x0
	v_cmpx_lt_i32_e32 -1, v6
	s_cbranch_execz .LBB32_50
; %bb.29:
	global_load_b64 v[0:1], v6, s[8:9] scale_offset
	v_mov_b32_e32 v7, 0
                                        ; implicit-def: $vgpr10
	s_mov_b32 s2, exec_lo
	s_wait_loadcnt 0x0
	v_cmp_gt_f32_e32 vcc_lo, 0, v0
	v_cndmask_b32_e64 v8, v0, -v0, vcc_lo
	v_cmp_gt_f32_e32 vcc_lo, 0, v1
	v_cndmask_b32_e64 v9, v1, -v1, vcc_lo
	s_delay_alu instid0(VALU_DEP_1)
	v_cmpx_ngt_f32_e32 v8, v9
	s_xor_b32 s5, exec_lo, s2
	s_cbranch_execz .LBB32_33
; %bb.30:
	v_mov_b32_e32 v10, 0
	s_mov_b32 s6, exec_lo
	v_cmpx_neq_f32_e32 0, v1
	s_cbranch_execz .LBB32_32
; %bb.31:
	v_div_scale_f32 v10, null, v9, v9, v8
	v_div_scale_f32 v13, vcc_lo, v8, v9, v8
	s_delay_alu instid0(VALU_DEP_2) | instskip(SKIP_1) | instid1(TRANS32_DEP_1)
	v_rcp_f32_e32 v11, v10
	v_nop
	v_fma_f32 v12, -v10, v11, 1.0
	s_delay_alu instid0(VALU_DEP_1) | instskip(NEXT) | instid1(VALU_DEP_1)
	v_fmac_f32_e32 v11, v12, v11
	v_mul_f32_e32 v12, v13, v11
	s_delay_alu instid0(VALU_DEP_1) | instskip(NEXT) | instid1(VALU_DEP_1)
	v_fma_f32 v16, -v10, v12, v13
	v_fmac_f32_e32 v12, v16, v11
	s_delay_alu instid0(VALU_DEP_1) | instskip(NEXT) | instid1(VALU_DEP_1)
	v_fma_f32 v10, -v10, v12, v13
	v_div_fmas_f32 v10, v10, v11, v12
	s_delay_alu instid0(VALU_DEP_1) | instskip(NEXT) | instid1(VALU_DEP_1)
	v_div_fixup_f32 v8, v10, v9, v8
	v_fma_f32 v8, v8, v8, 1.0
	s_delay_alu instid0(VALU_DEP_1) | instskip(SKIP_1) | instid1(VALU_DEP_2)
	v_mul_f32_e32 v10, 0x4f800000, v8
	v_cmp_gt_f32_e32 vcc_lo, 0xf800000, v8
	v_cndmask_b32_e32 v8, v8, v10, vcc_lo
	s_delay_alu instid0(VALU_DEP_1) | instskip(SKIP_1) | instid1(TRANS32_DEP_1)
	v_sqrt_f32_e32 v10, v8
	v_nop
	v_dual_add_nc_u32 v11, -1, v10 :: v_dual_add_nc_u32 v12, 1, v10
	s_delay_alu instid0(VALU_DEP_1) | instskip(NEXT) | instid1(VALU_DEP_1)
	v_fma_f32 v13, -v11, v10, v8
	v_cmp_ge_f32_e64 s2, 0, v13
	s_delay_alu instid0(VALU_DEP_1) | instskip(NEXT) | instid1(VALU_DEP_1)
	v_dual_fma_f32 v16, -v12, v10, v8 :: v_dual_cndmask_b32 v10, v10, v11, s2
	v_cmp_lt_f32_e64 s2, 0, v16
	s_delay_alu instid0(VALU_DEP_1) | instskip(NEXT) | instid1(VALU_DEP_1)
	v_cndmask_b32_e64 v10, v10, v12, s2
	v_mul_f32_e32 v11, 0x37800000, v10
	s_delay_alu instid0(VALU_DEP_1) | instskip(SKIP_1) | instid1(VALU_DEP_2)
	v_cndmask_b32_e32 v10, v10, v11, vcc_lo
	v_cmp_class_f32_e64 vcc_lo, v8, 0x260
	v_cndmask_b32_e32 v8, v10, v8, vcc_lo
	s_delay_alu instid0(VALU_DEP_1)
	v_mul_f32_e32 v10, v9, v8
.LBB32_32:
	s_or_b32 exec_lo, exec_lo, s6
                                        ; implicit-def: $vgpr8
                                        ; implicit-def: $vgpr9
.LBB32_33:
	s_and_not1_saveexec_b32 s5, s5
	s_cbranch_execz .LBB32_35
; %bb.34:
	v_div_scale_f32 v10, null, v8, v8, v9
	v_div_scale_f32 v13, vcc_lo, v9, v8, v9
	s_delay_alu instid0(VALU_DEP_2) | instskip(SKIP_1) | instid1(TRANS32_DEP_1)
	v_rcp_f32_e32 v11, v10
	v_nop
	v_fma_f32 v12, -v10, v11, 1.0
	s_delay_alu instid0(VALU_DEP_1) | instskip(NEXT) | instid1(VALU_DEP_1)
	v_fmac_f32_e32 v11, v12, v11
	v_mul_f32_e32 v12, v13, v11
	s_delay_alu instid0(VALU_DEP_1) | instskip(NEXT) | instid1(VALU_DEP_1)
	v_fma_f32 v16, -v10, v12, v13
	v_fmac_f32_e32 v12, v16, v11
	s_delay_alu instid0(VALU_DEP_1) | instskip(NEXT) | instid1(VALU_DEP_1)
	v_fma_f32 v10, -v10, v12, v13
	v_div_fmas_f32 v10, v10, v11, v12
	s_delay_alu instid0(VALU_DEP_1) | instskip(NEXT) | instid1(VALU_DEP_1)
	v_div_fixup_f32 v9, v10, v8, v9
	v_fma_f32 v9, v9, v9, 1.0
	s_delay_alu instid0(VALU_DEP_1) | instskip(SKIP_1) | instid1(VALU_DEP_2)
	v_mul_f32_e32 v10, 0x4f800000, v9
	v_cmp_gt_f32_e32 vcc_lo, 0xf800000, v9
	v_cndmask_b32_e32 v9, v9, v10, vcc_lo
	s_delay_alu instid0(VALU_DEP_1) | instskip(SKIP_1) | instid1(TRANS32_DEP_1)
	v_sqrt_f32_e32 v10, v9
	v_nop
	v_dual_add_nc_u32 v11, -1, v10 :: v_dual_add_nc_u32 v12, 1, v10
	s_delay_alu instid0(VALU_DEP_1) | instskip(NEXT) | instid1(VALU_DEP_1)
	v_fma_f32 v13, -v11, v10, v9
	v_cmp_ge_f32_e64 s2, 0, v13
	s_delay_alu instid0(VALU_DEP_1) | instskip(NEXT) | instid1(VALU_DEP_1)
	v_dual_fma_f32 v16, -v12, v10, v9 :: v_dual_cndmask_b32 v10, v10, v11, s2
	v_cmp_lt_f32_e64 s2, 0, v16
	s_delay_alu instid0(VALU_DEP_1) | instskip(NEXT) | instid1(VALU_DEP_1)
	v_cndmask_b32_e64 v10, v10, v12, s2
	v_mul_f32_e32 v11, 0x37800000, v10
	s_delay_alu instid0(VALU_DEP_1) | instskip(SKIP_1) | instid1(VALU_DEP_2)
	v_cndmask_b32_e32 v10, v10, v11, vcc_lo
	v_cmp_class_f32_e64 vcc_lo, v9, 0x260
	v_cndmask_b32_e32 v9, v10, v9, vcc_lo
	s_delay_alu instid0(VALU_DEP_1)
	v_mul_f32_e32 v10, v8, v9
.LBB32_35:
	s_or_b32 exec_lo, exec_lo, s5
	s_delay_alu instid0(VALU_DEP_1)
	v_cvt_f64_f32_e32 v[8:9], v10
	v_cmp_ne_u32_e32 vcc_lo, 1, v15
	v_cmp_eq_u32_e64 s2, 0, v14
	s_mov_b32 s5, -1
	s_cbranch_vccnz .LBB32_39
; %bb.36:
	v_cvt_f64_f32_e32 v[10:11], s29
	s_cmp_eq_u64 s[20:21], 8
	s_cselect_b32 vcc_lo, -1, 0
	s_delay_alu instid0(VALU_DEP_1) | instskip(NEXT) | instid1(VALU_DEP_1)
	v_dual_cndmask_b32 v5, v11, v5 :: v_dual_cndmask_b32 v4, v10, v4
	v_cmp_ge_f64_e32 vcc_lo, v[4:5], v[8:9]
	s_and_b32 s6, s2, vcc_lo
	s_delay_alu instid0(SALU_CYCLE_1)
	s_and_saveexec_b32 s5, s6
	s_cbranch_execz .LBB32_38
; %bb.37:
	v_lshl_add_u64 v[4:5], v[6:7], 3, s[8:9]
	v_dual_mov_b32 v6, s3 :: v_dual_mov_b32 v7, s22
	global_store_b64 v[4:5], v[6:7], off
.LBB32_38:
	s_wait_xcnt 0x0
	s_or_b32 exec_lo, exec_lo, s5
	s_mov_b32 s5, 0
.LBB32_39:
	s_delay_alu instid0(SALU_CYCLE_1)
	s_and_not1_b32 vcc_lo, exec_lo, s5
	s_cbranch_vccnz .LBB32_50
; %bb.40:
	s_load_b64 s[0:1], s[0:1], 0x48
	v_add_nc_u32_e32 v4, s28, v2
	s_wait_kmcnt 0x0
	v_cmp_ge_f64_e32 vcc_lo, s[0:1], v[8:9]
	s_and_b32 s1, s2, vcc_lo
	s_delay_alu instid0(SALU_CYCLE_1)
	s_and_saveexec_b32 s0, s1
	s_cbranch_execz .LBB32_45
; %bb.41:
	s_mov_b32 s3, exec_lo
	s_brev_b32 s1, -2
.LBB32_42:                              ; =>This Inner Loop Header: Depth=1
	s_ctz_i32_b32 s5, s3
	s_delay_alu instid0(SALU_CYCLE_1) | instskip(SKIP_1) | instid1(SALU_CYCLE_1)
	v_readlane_b32 s6, v4, s5
	s_lshl_b32 s5, 1, s5
	s_and_not1_b32 s3, s3, s5
	s_min_i32 s1, s1, s6
	s_cmp_lg_u32 s3, 0
	s_cbranch_scc1 .LBB32_42
; %bb.43:
	v_mbcnt_lo_u32_b32 v5, exec_lo, 0
	s_mov_b32 s3, exec_lo
	s_delay_alu instid0(VALU_DEP_1)
	v_cmpx_eq_u32_e32 0, v5
	s_xor_b32 s3, exec_lo, s3
	s_cbranch_execz .LBB32_45
; %bb.44:
	v_dual_mov_b32 v5, 0 :: v_dual_mov_b32 v6, s1
	global_atomic_min_i32 v5, v6, s[18:19] scope:SCOPE_DEV
.LBB32_45:
	s_wait_xcnt 0x0
	s_or_b32 exec_lo, exec_lo, s0
	v_cmp_eq_f32_e32 vcc_lo, 0, v0
	v_cmp_eq_f32_e64 s0, 0, v1
	s_and_b32 s0, vcc_lo, s0
	s_delay_alu instid0(SALU_CYCLE_1) | instskip(NEXT) | instid1(SALU_CYCLE_1)
	s_and_b32 s0, s2, s0
	s_and_b32 exec_lo, exec_lo, s0
	s_cbranch_execz .LBB32_50
; %bb.46:
	s_mov_b32 s1, exec_lo
	s_brev_b32 s0, -2
.LBB32_47:                              ; =>This Inner Loop Header: Depth=1
	s_ctz_i32_b32 s2, s1
	s_delay_alu instid0(SALU_CYCLE_1) | instskip(SKIP_1) | instid1(SALU_CYCLE_1)
	v_readlane_b32 s3, v4, s2
	s_lshl_b32 s2, 1, s2
	s_and_not1_b32 s1, s1, s2
	s_min_i32 s0, s0, s3
	s_cmp_lg_u32 s1, 0
	s_cbranch_scc1 .LBB32_47
; %bb.48:
	v_mbcnt_lo_u32_b32 v0, exec_lo, 0
	s_mov_b32 s1, exec_lo
	s_delay_alu instid0(VALU_DEP_1)
	v_cmpx_eq_u32_e32 0, v0
	s_xor_b32 s1, exec_lo, s1
	s_cbranch_execz .LBB32_50
; %bb.49:
	v_dual_mov_b32 v0, 0 :: v_dual_mov_b32 v1, s0
	global_atomic_min_i32 v0, v1, s[16:17] scope:SCOPE_DEV
.LBB32_50:
	s_wait_xcnt 0x0
	s_or_b32 exec_lo, exec_lo, s4
	v_cmp_eq_u32_e32 vcc_lo, 0, v14
	global_wb scope:SCOPE_DEV
	s_wait_storecnt 0x0
	global_inv scope:SCOPE_DEV
	s_and_b32 exec_lo, exec_lo, vcc_lo
	s_cbranch_execz .LBB32_52
; %bb.51:
	v_lshl_add_u64 v[0:1], v[2:3], 2, s[12:13]
	v_mov_b32_e32 v2, 1
	global_wb scope:SCOPE_DEV
	s_wait_loadcnt 0x0
	s_wait_storecnt 0x0
	global_store_b32 v[0:1], v2, off scope:SCOPE_DEV
.LBB32_52:
	s_endpgm
	.section	.rodata,"a",@progbits
	.p2align	6, 0x0
	.amdhsa_kernel _ZN9rocsparseL17csrilu0_binsearchILj256ELj32ELb0E21rocsparse_complex_numIfEEEviPKiS4_PT2_S4_PiS4_S7_S7_d21rocsparse_index_base_imNS_24const_host_device_scalarIfEENS9_IdEENS9_IS5_EEb
		.amdhsa_group_segment_fixed_size 0
		.amdhsa_private_segment_fixed_size 0
		.amdhsa_kernarg_size 124
		.amdhsa_user_sgpr_count 2
		.amdhsa_user_sgpr_dispatch_ptr 0
		.amdhsa_user_sgpr_queue_ptr 0
		.amdhsa_user_sgpr_kernarg_segment_ptr 1
		.amdhsa_user_sgpr_dispatch_id 0
		.amdhsa_user_sgpr_kernarg_preload_length 0
		.amdhsa_user_sgpr_kernarg_preload_offset 0
		.amdhsa_user_sgpr_private_segment_size 0
		.amdhsa_wavefront_size32 1
		.amdhsa_uses_dynamic_stack 0
		.amdhsa_enable_private_segment 0
		.amdhsa_system_sgpr_workgroup_id_x 1
		.amdhsa_system_sgpr_workgroup_id_y 0
		.amdhsa_system_sgpr_workgroup_id_z 0
		.amdhsa_system_sgpr_workgroup_info 0
		.amdhsa_system_vgpr_workitem_id 0
		.amdhsa_next_free_vgpr 24
		.amdhsa_next_free_sgpr 30
		.amdhsa_named_barrier_count 0
		.amdhsa_reserve_vcc 1
		.amdhsa_float_round_mode_32 0
		.amdhsa_float_round_mode_16_64 0
		.amdhsa_float_denorm_mode_32 3
		.amdhsa_float_denorm_mode_16_64 3
		.amdhsa_fp16_overflow 0
		.amdhsa_memory_ordered 1
		.amdhsa_forward_progress 1
		.amdhsa_inst_pref_size 19
		.amdhsa_round_robin_scheduling 0
		.amdhsa_exception_fp_ieee_invalid_op 0
		.amdhsa_exception_fp_denorm_src 0
		.amdhsa_exception_fp_ieee_div_zero 0
		.amdhsa_exception_fp_ieee_overflow 0
		.amdhsa_exception_fp_ieee_underflow 0
		.amdhsa_exception_fp_ieee_inexact 0
		.amdhsa_exception_int_div_zero 0
	.end_amdhsa_kernel
	.section	.text._ZN9rocsparseL17csrilu0_binsearchILj256ELj32ELb0E21rocsparse_complex_numIfEEEviPKiS4_PT2_S4_PiS4_S7_S7_d21rocsparse_index_base_imNS_24const_host_device_scalarIfEENS9_IdEENS9_IS5_EEb,"axG",@progbits,_ZN9rocsparseL17csrilu0_binsearchILj256ELj32ELb0E21rocsparse_complex_numIfEEEviPKiS4_PT2_S4_PiS4_S7_S7_d21rocsparse_index_base_imNS_24const_host_device_scalarIfEENS9_IdEENS9_IS5_EEb,comdat
.Lfunc_end32:
	.size	_ZN9rocsparseL17csrilu0_binsearchILj256ELj32ELb0E21rocsparse_complex_numIfEEEviPKiS4_PT2_S4_PiS4_S7_S7_d21rocsparse_index_base_imNS_24const_host_device_scalarIfEENS9_IdEENS9_IS5_EEb, .Lfunc_end32-_ZN9rocsparseL17csrilu0_binsearchILj256ELj32ELb0E21rocsparse_complex_numIfEEEviPKiS4_PT2_S4_PiS4_S7_S7_d21rocsparse_index_base_imNS_24const_host_device_scalarIfEENS9_IdEENS9_IS5_EEb
                                        ; -- End function
	.set _ZN9rocsparseL17csrilu0_binsearchILj256ELj32ELb0E21rocsparse_complex_numIfEEEviPKiS4_PT2_S4_PiS4_S7_S7_d21rocsparse_index_base_imNS_24const_host_device_scalarIfEENS9_IdEENS9_IS5_EEb.num_vgpr, 24
	.set _ZN9rocsparseL17csrilu0_binsearchILj256ELj32ELb0E21rocsparse_complex_numIfEEEviPKiS4_PT2_S4_PiS4_S7_S7_d21rocsparse_index_base_imNS_24const_host_device_scalarIfEENS9_IdEENS9_IS5_EEb.num_agpr, 0
	.set _ZN9rocsparseL17csrilu0_binsearchILj256ELj32ELb0E21rocsparse_complex_numIfEEEviPKiS4_PT2_S4_PiS4_S7_S7_d21rocsparse_index_base_imNS_24const_host_device_scalarIfEENS9_IdEENS9_IS5_EEb.numbered_sgpr, 30
	.set _ZN9rocsparseL17csrilu0_binsearchILj256ELj32ELb0E21rocsparse_complex_numIfEEEviPKiS4_PT2_S4_PiS4_S7_S7_d21rocsparse_index_base_imNS_24const_host_device_scalarIfEENS9_IdEENS9_IS5_EEb.num_named_barrier, 0
	.set _ZN9rocsparseL17csrilu0_binsearchILj256ELj32ELb0E21rocsparse_complex_numIfEEEviPKiS4_PT2_S4_PiS4_S7_S7_d21rocsparse_index_base_imNS_24const_host_device_scalarIfEENS9_IdEENS9_IS5_EEb.private_seg_size, 0
	.set _ZN9rocsparseL17csrilu0_binsearchILj256ELj32ELb0E21rocsparse_complex_numIfEEEviPKiS4_PT2_S4_PiS4_S7_S7_d21rocsparse_index_base_imNS_24const_host_device_scalarIfEENS9_IdEENS9_IS5_EEb.uses_vcc, 1
	.set _ZN9rocsparseL17csrilu0_binsearchILj256ELj32ELb0E21rocsparse_complex_numIfEEEviPKiS4_PT2_S4_PiS4_S7_S7_d21rocsparse_index_base_imNS_24const_host_device_scalarIfEENS9_IdEENS9_IS5_EEb.uses_flat_scratch, 0
	.set _ZN9rocsparseL17csrilu0_binsearchILj256ELj32ELb0E21rocsparse_complex_numIfEEEviPKiS4_PT2_S4_PiS4_S7_S7_d21rocsparse_index_base_imNS_24const_host_device_scalarIfEENS9_IdEENS9_IS5_EEb.has_dyn_sized_stack, 0
	.set _ZN9rocsparseL17csrilu0_binsearchILj256ELj32ELb0E21rocsparse_complex_numIfEEEviPKiS4_PT2_S4_PiS4_S7_S7_d21rocsparse_index_base_imNS_24const_host_device_scalarIfEENS9_IdEENS9_IS5_EEb.has_recursion, 0
	.set _ZN9rocsparseL17csrilu0_binsearchILj256ELj32ELb0E21rocsparse_complex_numIfEEEviPKiS4_PT2_S4_PiS4_S7_S7_d21rocsparse_index_base_imNS_24const_host_device_scalarIfEENS9_IdEENS9_IS5_EEb.has_indirect_call, 0
	.section	.AMDGPU.csdata,"",@progbits
; Kernel info:
; codeLenInByte = 2348
; TotalNumSgprs: 32
; NumVgprs: 24
; ScratchSize: 0
; MemoryBound: 0
; FloatMode: 240
; IeeeMode: 1
; LDSByteSize: 0 bytes/workgroup (compile time only)
; SGPRBlocks: 0
; VGPRBlocks: 1
; NumSGPRsForWavesPerEU: 32
; NumVGPRsForWavesPerEU: 24
; NamedBarCnt: 0
; Occupancy: 16
; WaveLimiterHint : 1
; COMPUTE_PGM_RSRC2:SCRATCH_EN: 0
; COMPUTE_PGM_RSRC2:USER_SGPR: 2
; COMPUTE_PGM_RSRC2:TRAP_HANDLER: 0
; COMPUTE_PGM_RSRC2:TGID_X_EN: 1
; COMPUTE_PGM_RSRC2:TGID_Y_EN: 0
; COMPUTE_PGM_RSRC2:TGID_Z_EN: 0
; COMPUTE_PGM_RSRC2:TIDIG_COMP_CNT: 0
	.section	.text._ZN9rocsparseL12csrilu0_hashILj256ELj64ELj1E21rocsparse_complex_numIfEEEviPKiS4_PT2_S4_PiS4_S7_S7_d21rocsparse_index_base_imNS_24const_host_device_scalarIfEENS9_IdEENS9_IS5_EEb,"axG",@progbits,_ZN9rocsparseL12csrilu0_hashILj256ELj64ELj1E21rocsparse_complex_numIfEEEviPKiS4_PT2_S4_PiS4_S7_S7_d21rocsparse_index_base_imNS_24const_host_device_scalarIfEENS9_IdEENS9_IS5_EEb,comdat
	.globl	_ZN9rocsparseL12csrilu0_hashILj256ELj64ELj1E21rocsparse_complex_numIfEEEviPKiS4_PT2_S4_PiS4_S7_S7_d21rocsparse_index_base_imNS_24const_host_device_scalarIfEENS9_IdEENS9_IS5_EEb ; -- Begin function _ZN9rocsparseL12csrilu0_hashILj256ELj64ELj1E21rocsparse_complex_numIfEEEviPKiS4_PT2_S4_PiS4_S7_S7_d21rocsparse_index_base_imNS_24const_host_device_scalarIfEENS9_IdEENS9_IS5_EEb
	.p2align	8
	.type	_ZN9rocsparseL12csrilu0_hashILj256ELj64ELj1E21rocsparse_complex_numIfEEEviPKiS4_PT2_S4_PiS4_S7_S7_d21rocsparse_index_base_imNS_24const_host_device_scalarIfEENS9_IdEENS9_IS5_EEb,@function
_ZN9rocsparseL12csrilu0_hashILj256ELj64ELj1E21rocsparse_complex_numIfEEEviPKiS4_PT2_S4_PiS4_S7_S7_d21rocsparse_index_base_imNS_24const_host_device_scalarIfEENS9_IdEENS9_IS5_EEb: ; @_ZN9rocsparseL12csrilu0_hashILj256ELj64ELj1E21rocsparse_complex_numIfEEEviPKiS4_PT2_S4_PiS4_S7_S7_d21rocsparse_index_base_imNS_24const_host_device_scalarIfEENS9_IdEENS9_IS5_EEb
; %bb.0:
	s_clause 0x2
	s_load_b32 s2, s[0:1], 0x78
	s_load_b64 s[28:29], s[0:1], 0x50
	s_load_b256 s[20:27], s[0:1], 0x58
	s_wait_kmcnt 0x0
	s_bitcmp1_b32 s2, 0
	s_cselect_b32 s4, -1, 0
	s_cmp_eq_u32 s29, 0
	s_cselect_b32 s2, -1, 0
	s_cmp_lg_u32 s29, 0
	s_cselect_b32 s5, -1, 0
	s_or_b32 s7, s2, s4
	s_delay_alu instid0(SALU_CYCLE_1)
	s_xor_b32 s6, s7, -1
	s_and_b32 s2, s2, exec_lo
	s_cselect_b32 s3, 0, s25
	s_cselect_b32 s2, 0, s24
	;; [unrolled: 1-line block ×3, first 2 shown]
	s_and_b32 vcc_lo, exec_lo, s7
	s_cbranch_vccnz .LBB33_2
; %bb.1:
	s_load_b32 s29, s[22:23], 0x0
	s_mov_b64 s[2:3], s[24:25]
.LBB33_2:
	s_delay_alu instid0(SALU_CYCLE_1)
	v_mov_b64_e32 v[2:3], s[2:3]
	s_and_not1_b32 vcc_lo, exec_lo, s6
	s_cbranch_vccnz .LBB33_4
; %bb.3:
	v_mov_b32_e32 v1, 0
	flat_load_b64 v[2:3], v1, s[24:25]
.LBB33_4:
	v_cndmask_b32_e64 v15, 0, 1, s5
	s_mov_b32 s3, 0
	s_and_not1_b32 vcc_lo, exec_lo, s5
	s_wait_xcnt 0x0
	s_mov_b32 s22, 0
	s_cbranch_vccnz .LBB33_10
; %bb.5:
	s_xor_b32 s2, s4, -1
	s_mov_b32 s3, s26
	v_cndmask_b32_e64 v1, 0, 1, s2
	s_and_not1_b32 vcc_lo, exec_lo, s2
	s_cbranch_vccnz .LBB33_7
; %bb.6:
	s_load_b32 s3, s[26:27], 0x0
.LBB33_7:
	s_delay_alu instid0(VALU_DEP_1)
	v_cmp_ne_u32_e32 vcc_lo, 1, v1
	s_cbranch_vccnz .LBB33_9
; %bb.8:
	s_wait_xcnt 0x0
	s_load_b32 s27, s[26:27], 0x4
.LBB33_9:
	s_wait_kmcnt 0x0
	s_mov_b32 s22, s27
.LBB33_10:
	s_load_b32 s2, s[0:1], 0x0
	s_bfe_u32 s4, ttmp6, 0x4000c
	s_and_b32 s5, ttmp6, 15
	s_add_co_i32 s4, s4, 1
	s_getreg_b32 s6, hwreg(HW_REG_IB_STS2, 6, 4)
	s_mul_i32 s4, ttmp9, s4
	v_and_b32_e32 v14, 63, v0
	s_add_co_i32 s5, s5, s4
	s_cmp_eq_u32 s6, 0
	v_and_b32_e32 v9, 0xc0, v0
	v_lshrrev_b32_e32 v0, 6, v0
	s_cselect_b32 s4, ttmp9, s5
	v_mov_b32_e32 v4, -1
	s_lshl_b32 s4, s4, 2
	v_lshl_or_b32 v5, v9, 2, 0x400
	v_and_or_b32 v0, 0x3fffffc, s4, v0
	s_delay_alu instid0(VALU_DEP_2) | instskip(SKIP_1) | instid1(VALU_DEP_2)
	v_lshl_or_b32 v1, v14, 2, v5
	s_wait_kmcnt 0x0
	v_cmp_gt_i32_e32 vcc_lo, s2, v0
	ds_store_b32 v1, v4
	s_wait_loadcnt_dscnt 0x0
	s_and_saveexec_b32 s2, vcc_lo
	s_cbranch_execz .LBB33_88
; %bb.11:
	s_load_b512 s[4:19], s[0:1], 0x8
	v_lshlrev_b32_e32 v16, 2, v9
	s_mov_b32 s2, exec_lo
	s_wait_kmcnt 0x0
	global_load_b32 v0, v0, s[14:15] scale_offset
	s_wait_loadcnt 0x0
	v_ashrrev_i32_e32 v1, 31, v0
	s_delay_alu instid0(VALU_DEP_1)
	v_lshl_add_u64 v[6:7], v[0:1], 2, s[4:5]
	global_load_b64 v[10:11], v[6:7], off
	global_load_b32 v4, v0, s[10:11] scale_offset
	s_wait_loadcnt 0x1
	s_wait_xcnt 0x1
	v_subrev_nc_u32_e32 v6, s28, v10
	v_subrev_nc_u32_e32 v7, s28, v11
	s_delay_alu instid0(VALU_DEP_2) | instskip(SKIP_1) | instid1(VALU_DEP_1)
	v_add_nc_u32_e32 v8, v6, v14
	s_wait_xcnt 0x0
	v_cmpx_lt_i32_e64 v8, v7
	s_cbranch_execz .LBB33_34
; %bb.12:
	v_mov_b32_e32 v9, -1
	s_mov_b32 s14, 0
	s_branch .LBB33_14
.LBB33_13:                              ;   in Loop: Header=BB33_14 Depth=1
	s_or_b32 exec_lo, exec_lo, s15
	v_add_nc_u32_e32 v8, 64, v8
	s_delay_alu instid0(VALU_DEP_1) | instskip(SKIP_1) | instid1(SALU_CYCLE_1)
	v_cmp_ge_i32_e32 vcc_lo, v8, v7
	s_or_b32 s14, vcc_lo, s14
	s_and_not1_b32 exec_lo, exec_lo, s14
	s_cbranch_execz .LBB33_34
.LBB33_14:                              ; =>This Loop Header: Depth=1
                                        ;     Child Loop BB33_23 Depth 2
	global_load_b32 v10, v8, s[6:7] scale_offset
	v_mov_b32_e32 v11, 64
	s_mov_b32 s15, 0
                                        ; implicit-def: $sgpr23
                                        ; implicit-def: $sgpr24
                                        ; implicit-def: $sgpr25
	s_wait_loadcnt 0x0
	v_mul_lo_u32 v13, v10, 39
	s_branch .LBB33_23
.LBB33_15:                              ;   in Loop: Header=BB33_23 Depth=2
	s_or_b32 exec_lo, exec_lo, s38
	s_delay_alu instid0(SALU_CYCLE_1)
	s_or_not1_b32 s36, s36, exec_lo
	s_or_not1_b32 s37, s37, exec_lo
.LBB33_16:                              ;   in Loop: Header=BB33_23 Depth=2
	s_or_b32 exec_lo, exec_lo, s35
	s_delay_alu instid0(SALU_CYCLE_1)
	s_and_b32 s36, s36, exec_lo
	s_or_not1_b32 s35, s37, exec_lo
.LBB33_17:                              ;   in Loop: Header=BB33_23 Depth=2
	s_or_b32 exec_lo, exec_lo, s34
	s_delay_alu instid0(SALU_CYCLE_1)
	s_or_not1_b32 s34, s36, exec_lo
	s_or_not1_b32 s35, s35, exec_lo
.LBB33_18:                              ;   in Loop: Header=BB33_23 Depth=2
	s_or_b32 exec_lo, exec_lo, s33
	s_delay_alu instid0(SALU_CYCLE_1)
	s_and_b32 s34, s34, exec_lo
	s_or_not1_b32 s33, s35, exec_lo
.LBB33_19:                              ;   in Loop: Header=BB33_23 Depth=2
	s_or_b32 exec_lo, exec_lo, s31
	s_delay_alu instid0(SALU_CYCLE_1)
	s_or_not1_b32 s31, s34, exec_lo
	s_or_not1_b32 s33, s33, exec_lo
.LBB33_20:                              ;   in Loop: Header=BB33_23 Depth=2
	s_or_b32 exec_lo, exec_lo, s30
	s_delay_alu instid0(SALU_CYCLE_1)
	s_and_b32 s31, s31, exec_lo
	s_or_not1_b32 s30, s33, exec_lo
.LBB33_21:                              ;   in Loop: Header=BB33_23 Depth=2
	s_or_b32 exec_lo, exec_lo, s27
	s_delay_alu instid0(SALU_CYCLE_1)
	s_and_not1_b32 s25, s25, exec_lo
	s_and_b32 s27, s31, exec_lo
	s_and_not1_b32 s24, s24, exec_lo
	s_and_b32 s30, s30, exec_lo
	s_or_b32 s25, s25, s27
	s_or_b32 s24, s24, s30
.LBB33_22:                              ;   in Loop: Header=BB33_23 Depth=2
	s_or_b32 exec_lo, exec_lo, s26
	s_delay_alu instid0(SALU_CYCLE_1) | instskip(NEXT) | instid1(SALU_CYCLE_1)
	s_and_b32 s26, exec_lo, s24
	s_or_b32 s15, s26, s15
	s_and_not1_b32 s23, s23, exec_lo
	s_and_b32 s26, s25, exec_lo
	s_delay_alu instid0(SALU_CYCLE_1)
	s_or_b32 s23, s23, s26
	s_and_not1_b32 exec_lo, exec_lo, s15
	s_cbranch_execz .LBB33_32
.LBB33_23:                              ;   Parent Loop BB33_14 Depth=1
                                        ; =>  This Inner Loop Header: Depth=2
	s_delay_alu instid0(VALU_DEP_1) | instskip(SKIP_3) | instid1(VALU_DEP_1)
	v_and_b32_e32 v12, 63, v13
	s_or_b32 s25, s25, exec_lo
	s_or_b32 s24, s24, exec_lo
	s_mov_b32 s26, exec_lo
	v_lshl_add_u32 v17, v12, 2, v5
	ds_load_b32 v18, v17
	s_wait_dscnt 0x0
	s_wait_xcnt 0x0
	v_cmpx_ne_u32_e64 v18, v10
	s_cbranch_execz .LBB33_22
; %bb.24:                               ;   in Loop: Header=BB33_23 Depth=2
	ds_cmpstore_rtn_b32 v17, v17, v10, v9
	s_mov_b32 s30, -1
	s_mov_b32 s31, 0
	s_mov_b32 s27, exec_lo
	s_wait_dscnt 0x0
	v_cmpx_ne_u32_e32 -1, v17
	s_cbranch_execz .LBB33_21
; %bb.25:                               ;   in Loop: Header=BB33_23 Depth=2
	v_add_nc_u32_e32 v12, 1, v13
	s_mov_b32 s33, -1
	s_mov_b32 s31, -1
	s_mov_b32 s30, exec_lo
	s_delay_alu instid0(VALU_DEP_1) | instskip(NEXT) | instid1(VALU_DEP_1)
	v_and_b32_e32 v12, 63, v12
	v_lshl_add_u32 v17, v12, 2, v5
	ds_load_b32 v18, v17
	s_wait_dscnt 0x0
	v_cmpx_ne_u32_e64 v18, v10
	s_cbranch_execz .LBB33_20
; %bb.26:                               ;   in Loop: Header=BB33_23 Depth=2
	ds_cmpstore_rtn_b32 v17, v17, v10, v9
	s_mov_b32 s34, 0
	s_mov_b32 s31, exec_lo
	s_wait_dscnt 0x0
	v_cmpx_ne_u32_e32 -1, v17
	s_cbranch_execz .LBB33_19
; %bb.27:                               ;   in Loop: Header=BB33_23 Depth=2
	v_add_nc_u32_e32 v12, 2, v13
	s_mov_b32 s35, -1
	s_mov_b32 s34, -1
	s_mov_b32 s33, exec_lo
	s_delay_alu instid0(VALU_DEP_1) | instskip(NEXT) | instid1(VALU_DEP_1)
	v_and_b32_e32 v12, 63, v12
	v_lshl_add_u32 v17, v12, 2, v5
	ds_load_b32 v18, v17
	s_wait_dscnt 0x0
	v_cmpx_ne_u32_e64 v18, v10
	s_cbranch_execz .LBB33_18
; %bb.28:                               ;   in Loop: Header=BB33_23 Depth=2
	ds_cmpstore_rtn_b32 v17, v17, v10, v9
	s_mov_b32 s36, 0
	s_mov_b32 s34, exec_lo
	s_wait_dscnt 0x0
	v_cmpx_ne_u32_e32 -1, v17
	s_cbranch_execz .LBB33_17
; %bb.29:                               ;   in Loop: Header=BB33_23 Depth=2
	v_add_nc_u32_e32 v12, 3, v13
	s_mov_b32 s37, -1
	s_mov_b32 s36, -1
	s_delay_alu instid0(VALU_DEP_1) | instskip(NEXT) | instid1(VALU_DEP_1)
	v_and_b32_e32 v12, 63, v12
	v_lshl_add_u32 v17, v12, 2, v5
	ds_load_b32 v13, v17
	s_wait_dscnt 0x0
	v_cmp_ne_u32_e32 vcc_lo, v13, v10
                                        ; implicit-def: $vgpr13
	s_and_saveexec_b32 s35, vcc_lo
	s_cbranch_execz .LBB33_16
; %bb.30:                               ;   in Loop: Header=BB33_23 Depth=2
	ds_cmpstore_rtn_b32 v13, v17, v10, v9
	s_mov_b32 s36, 0
	s_wait_dscnt 0x0
	v_cmp_ne_u32_e32 vcc_lo, -1, v13
                                        ; implicit-def: $vgpr13
	s_and_saveexec_b32 s38, vcc_lo
	s_cbranch_execz .LBB33_15
; %bb.31:                               ;   in Loop: Header=BB33_23 Depth=2
	v_dual_add_nc_u32 v11, -4, v11 :: v_dual_add_nc_u32 v13, 1, v12
	s_mov_b32 s36, exec_lo
	s_delay_alu instid0(VALU_DEP_1)
	v_cmp_eq_u32_e32 vcc_lo, 0, v11
	s_or_not1_b32 s37, vcc_lo, exec_lo
	s_branch .LBB33_15
.LBB33_32:                              ;   in Loop: Header=BB33_14 Depth=1
	s_or_b32 exec_lo, exec_lo, s15
	s_xor_b32 s15, s23, -1
	s_delay_alu instid0(SALU_CYCLE_1) | instskip(NEXT) | instid1(SALU_CYCLE_1)
	s_and_saveexec_b32 s23, s15
	s_xor_b32 s15, exec_lo, s23
	s_cbranch_execz .LBB33_13
; %bb.33:                               ;   in Loop: Header=BB33_14 Depth=1
	v_lshl_add_u32 v10, v12, 2, v16
	ds_store_b32 v10, v8
	s_branch .LBB33_13
.LBB33_34:
	s_or_b32 exec_lo, exec_lo, s2
	s_delay_alu instid0(SALU_CYCLE_1)
	s_mov_b32 s14, exec_lo
	s_wait_loadcnt_dscnt 0x0
	v_cmpx_lt_i32_e64 v6, v4
	s_cbranch_execz .LBB33_64
; %bb.35:
	v_add_nc_u32_e32 v17, 1, v14
	s_mov_b32 s15, 0
	s_branch .LBB33_38
.LBB33_36:                              ;   in Loop: Header=BB33_38 Depth=1
	s_or_b32 exec_lo, exec_lo, s23
	v_add_nc_u32_e32 v6, 1, v6
	s_delay_alu instid0(VALU_DEP_1)
	v_cmp_ge_i32_e32 vcc_lo, v6, v4
	s_or_not1_b32 s23, vcc_lo, exec_lo
.LBB33_37:                              ;   in Loop: Header=BB33_38 Depth=1
	s_or_b32 exec_lo, exec_lo, s2
	s_delay_alu instid0(SALU_CYCLE_1) | instskip(NEXT) | instid1(SALU_CYCLE_1)
	s_and_b32 s2, exec_lo, s23
	s_or_b32 s15, s2, s15
	s_delay_alu instid0(SALU_CYCLE_1)
	s_and_not1_b32 exec_lo, exec_lo, s15
	s_cbranch_execz .LBB33_64
.LBB33_38:                              ; =>This Loop Header: Depth=1
                                        ;     Child Loop BB33_39 Depth 2
                                        ;     Child Loop BB33_44 Depth 2
                                        ;       Child Loop BB33_53 Depth 3
	s_clause 0x1
	global_load_b32 v7, v6, s[6:7] scale_offset
	global_load_b64 v[8:9], v6, s[8:9] scale_offset
	s_mov_b32 s2, 0
	s_wait_loadcnt 0x1
	v_subrev_nc_u32_e32 v10, s28, v7
	v_ashrrev_i32_e32 v7, 31, v6
	s_clause 0x1
	global_load_b32 v19, v10, s[4:5] offset:4 scale_offset
	global_load_b32 v18, v10, s[10:11] scale_offset
	v_ashrrev_i32_e32 v11, 31, v10
	v_lshl_add_u64 v[12:13], v[6:7], 3, s[8:9]
	s_wait_xcnt 0x0
	s_delay_alu instid0(VALU_DEP_2)
	v_lshl_add_u64 v[10:11], v[10:11], 2, s[12:13]
.LBB33_39:                              ;   Parent Loop BB33_38 Depth=1
                                        ; =>  This Inner Loop Header: Depth=2
	global_load_b32 v7, v[10:11], off scope:SCOPE_DEV
	s_wait_loadcnt 0x0
	v_cmp_ne_u32_e32 vcc_lo, 0, v7
	s_or_b32 s2, vcc_lo, s2
	s_wait_xcnt 0x0
	s_and_not1_b32 exec_lo, exec_lo, s2
	s_cbranch_execnz .LBB33_39
; %bb.40:                               ;   in Loop: Header=BB33_38 Depth=1
	s_or_b32 exec_lo, exec_lo, s2
	v_subrev_nc_u32_e32 v7, s28, v19
	v_cmp_eq_u32_e32 vcc_lo, -1, v18
	global_inv scope:SCOPE_DEV
	s_mov_b32 s23, -1
	v_add_nc_u32_e32 v10, -1, v7
	s_delay_alu instid0(VALU_DEP_1)
	v_cndmask_b32_e32 v18, v18, v10, vcc_lo
	global_load_b64 v[10:11], v18, s[8:9] scale_offset
	s_wait_loadcnt 0x0
	v_cmp_neq_f32_e32 vcc_lo, 0, v10
	v_cmp_neq_f32_e64 s2, 0, v11
	s_or_b32 s24, vcc_lo, s2
	s_wait_xcnt 0x0
	s_and_saveexec_b32 s2, s24
	s_cbranch_execz .LBB33_37
; %bb.41:                               ;   in Loop: Header=BB33_38 Depth=1
	v_mul_f32_e32 v19, v11, v11
	s_mov_b32 s23, exec_lo
	s_delay_alu instid0(VALU_DEP_1) | instskip(NEXT) | instid1(VALU_DEP_1)
	v_fmac_f32_e32 v19, v10, v10
	v_div_scale_f32 v20, null, v19, v19, 1.0
	v_div_scale_f32 v23, vcc_lo, 1.0, v19, 1.0
	s_delay_alu instid0(VALU_DEP_2) | instskip(SKIP_1) | instid1(TRANS32_DEP_1)
	v_rcp_f32_e32 v21, v20
	v_nop
	v_fma_f32 v22, -v20, v21, 1.0
	s_delay_alu instid0(VALU_DEP_1) | instskip(NEXT) | instid1(VALU_DEP_1)
	v_fmac_f32_e32 v21, v22, v21
	v_mul_f32_e32 v22, v23, v21
	s_delay_alu instid0(VALU_DEP_1) | instskip(NEXT) | instid1(VALU_DEP_1)
	v_fma_f32 v24, -v20, v22, v23
	v_fmac_f32_e32 v22, v24, v21
	s_delay_alu instid0(VALU_DEP_1) | instskip(NEXT) | instid1(VALU_DEP_1)
	v_dual_fma_f32 v23, -v20, v22, v23 :: v_dual_mov_b32 v20, v11
	v_div_fmas_f32 v11, v23, v21, v22
	s_delay_alu instid0(VALU_DEP_2) | instskip(NEXT) | instid1(VALU_DEP_2)
	v_pk_mul_f32 v[20:21], v[8:9], v[20:21] op_sel:[1,0] op_sel_hi:[0,0] neg_hi:[1,0]
	v_div_fixup_f32 v22, v11, v19, 1.0
	s_delay_alu instid0(VALU_DEP_2) | instskip(SKIP_1) | instid1(VALU_DEP_2)
	v_pk_fma_f32 v[10:11], v[8:9], v[10:11], v[20:21] op_sel_hi:[1,0,1]
	v_add_nc_u32_e32 v8, v17, v18
	v_pk_mul_f32 v[10:11], v[10:11], v[22:23] op_sel_hi:[1,0]
	global_store_b64 v[12:13], v[10:11], off
	s_wait_xcnt 0x0
	v_cmpx_lt_i32_e64 v8, v7
	s_cbranch_execz .LBB33_36
; %bb.42:                               ;   in Loop: Header=BB33_38 Depth=1
	v_xor_b32_e32 v13, 0x80000000, v10
	v_mov_b32_e32 v12, v11
	s_mov_b32 s24, 0
	s_branch .LBB33_44
.LBB33_43:                              ;   in Loop: Header=BB33_44 Depth=2
	s_wait_xcnt 0x0
	s_or_b32 exec_lo, exec_lo, s25
	v_add_nc_u32_e32 v8, 64, v8
	s_delay_alu instid0(VALU_DEP_1) | instskip(SKIP_1) | instid1(SALU_CYCLE_1)
	v_cmp_ge_i32_e32 vcc_lo, v8, v7
	s_or_b32 s24, vcc_lo, s24
	s_and_not1_b32 exec_lo, exec_lo, s24
	s_cbranch_execz .LBB33_36
.LBB33_44:                              ;   Parent Loop BB33_38 Depth=1
                                        ; =>  This Loop Header: Depth=2
                                        ;       Child Loop BB33_53 Depth 3
	global_load_b32 v18, v8, s[6:7] scale_offset
	v_dual_ashrrev_i32 v9, 31, v8 :: v_dual_mov_b32 v19, 64
	s_mov_b32 s25, 0
                                        ; implicit-def: $sgpr26
                                        ; implicit-def: $sgpr27
                                        ; implicit-def: $sgpr30
	s_wait_loadcnt 0x0
	v_mul_lo_u32 v21, v18, 39
	s_branch .LBB33_53
.LBB33_45:                              ;   in Loop: Header=BB33_53 Depth=3
	s_or_b32 exec_lo, exec_lo, s41
	s_delay_alu instid0(SALU_CYCLE_1)
	s_or_not1_b32 s39, s39, exec_lo
	s_or_not1_b32 s40, s40, exec_lo
.LBB33_46:                              ;   in Loop: Header=BB33_53 Depth=3
	s_or_b32 exec_lo, exec_lo, s38
	s_delay_alu instid0(SALU_CYCLE_1)
	s_and_b32 s39, s39, exec_lo
	s_or_not1_b32 s38, s40, exec_lo
.LBB33_47:                              ;   in Loop: Header=BB33_53 Depth=3
	s_or_b32 exec_lo, exec_lo, s37
	s_delay_alu instid0(SALU_CYCLE_1)
	s_or_not1_b32 s37, s39, exec_lo
	s_or_not1_b32 s38, s38, exec_lo
.LBB33_48:                              ;   in Loop: Header=BB33_53 Depth=3
	s_or_b32 exec_lo, exec_lo, s36
	s_delay_alu instid0(SALU_CYCLE_1)
	s_and_b32 s37, s37, exec_lo
	s_or_not1_b32 s36, s38, exec_lo
.LBB33_49:                              ;   in Loop: Header=BB33_53 Depth=3
	s_or_b32 exec_lo, exec_lo, s35
	s_delay_alu instid0(SALU_CYCLE_1)
	s_or_not1_b32 s35, s37, exec_lo
	s_or_not1_b32 s36, s36, exec_lo
.LBB33_50:                              ;   in Loop: Header=BB33_53 Depth=3
	s_or_b32 exec_lo, exec_lo, s34
	s_delay_alu instid0(SALU_CYCLE_1)
	s_and_b32 s35, s35, exec_lo
	s_or_not1_b32 s34, s36, exec_lo
.LBB33_51:                              ;   in Loop: Header=BB33_53 Depth=3
	s_or_b32 exec_lo, exec_lo, s33
	s_delay_alu instid0(SALU_CYCLE_1)
	s_and_not1_b32 s30, s30, exec_lo
	s_and_b32 s33, s35, exec_lo
	s_and_not1_b32 s27, s27, exec_lo
	s_and_b32 s34, s34, exec_lo
	s_or_b32 s30, s30, s33
	s_or_b32 s27, s27, s34
.LBB33_52:                              ;   in Loop: Header=BB33_53 Depth=3
	s_or_b32 exec_lo, exec_lo, s31
	s_delay_alu instid0(SALU_CYCLE_1) | instskip(NEXT) | instid1(SALU_CYCLE_1)
	s_and_b32 s31, exec_lo, s27
	s_or_b32 s25, s31, s25
	s_and_not1_b32 s26, s26, exec_lo
	s_and_b32 s31, s30, exec_lo
	s_delay_alu instid0(SALU_CYCLE_1)
	s_or_b32 s26, s26, s31
	s_and_not1_b32 exec_lo, exec_lo, s25
	s_cbranch_execz .LBB33_62
.LBB33_53:                              ;   Parent Loop BB33_38 Depth=1
                                        ;     Parent Loop BB33_44 Depth=2
                                        ; =>    This Inner Loop Header: Depth=3
	s_delay_alu instid0(VALU_DEP_1) | instskip(SKIP_3) | instid1(VALU_DEP_1)
	v_and_b32_e32 v20, 63, v21
	s_or_b32 s30, s30, exec_lo
	s_or_b32 s27, s27, exec_lo
	s_mov_b32 s31, exec_lo
	v_lshl_add_u32 v22, v20, 2, v5
	ds_load_b32 v22, v22
	s_wait_dscnt 0x0
	s_wait_xcnt 0x0
	v_cmpx_ne_u32_e32 -1, v22
	s_cbranch_execz .LBB33_52
; %bb.54:                               ;   in Loop: Header=BB33_53 Depth=3
	s_mov_b32 s34, -1
	s_mov_b32 s35, 0
	s_mov_b32 s33, exec_lo
	v_cmpx_ne_u32_e64 v22, v18
	s_cbranch_execz .LBB33_51
; %bb.55:                               ;   in Loop: Header=BB33_53 Depth=3
	v_add_nc_u32_e32 v20, 1, v21
	s_mov_b32 s36, -1
	s_mov_b32 s35, -1
	s_mov_b32 s34, exec_lo
	s_delay_alu instid0(VALU_DEP_1) | instskip(NEXT) | instid1(VALU_DEP_1)
	v_and_b32_e32 v20, 63, v20
	v_lshl_add_u32 v22, v20, 2, v5
	ds_load_b32 v22, v22
	s_wait_dscnt 0x0
	v_cmpx_ne_u32_e32 -1, v22
	s_cbranch_execz .LBB33_50
; %bb.56:                               ;   in Loop: Header=BB33_53 Depth=3
	s_mov_b32 s37, 0
	s_mov_b32 s35, exec_lo
	v_cmpx_ne_u32_e64 v22, v18
	s_cbranch_execz .LBB33_49
; %bb.57:                               ;   in Loop: Header=BB33_53 Depth=3
	v_add_nc_u32_e32 v20, 2, v21
	s_mov_b32 s38, -1
	s_mov_b32 s37, -1
	s_mov_b32 s36, exec_lo
	s_delay_alu instid0(VALU_DEP_1) | instskip(NEXT) | instid1(VALU_DEP_1)
	v_and_b32_e32 v20, 63, v20
	v_lshl_add_u32 v22, v20, 2, v5
	ds_load_b32 v22, v22
	s_wait_dscnt 0x0
	v_cmpx_ne_u32_e32 -1, v22
	s_cbranch_execz .LBB33_48
; %bb.58:                               ;   in Loop: Header=BB33_53 Depth=3
	s_mov_b32 s39, 0
	s_mov_b32 s37, exec_lo
	v_cmpx_ne_u32_e64 v22, v18
	s_cbranch_execz .LBB33_47
; %bb.59:                               ;   in Loop: Header=BB33_53 Depth=3
	v_add_nc_u32_e32 v20, 3, v21
	s_mov_b32 s40, -1
	s_mov_b32 s39, -1
	s_mov_b32 s38, exec_lo
	s_delay_alu instid0(VALU_DEP_1) | instskip(NEXT) | instid1(VALU_DEP_1)
	v_and_b32_e32 v20, 63, v20
	v_lshl_add_u32 v21, v20, 2, v5
	ds_load_b32 v22, v21
                                        ; implicit-def: $vgpr21
	s_wait_dscnt 0x0
	v_cmpx_ne_u32_e32 -1, v22
	s_cbranch_execz .LBB33_46
; %bb.60:                               ;   in Loop: Header=BB33_53 Depth=3
	s_mov_b32 s39, 0
	s_mov_b32 s41, exec_lo
                                        ; implicit-def: $vgpr21
	v_cmpx_ne_u32_e64 v22, v18
	s_cbranch_execz .LBB33_45
; %bb.61:                               ;   in Loop: Header=BB33_53 Depth=3
	v_dual_add_nc_u32 v19, -4, v19 :: v_dual_add_nc_u32 v21, 1, v20
	s_mov_b32 s39, exec_lo
	s_delay_alu instid0(VALU_DEP_1)
	v_cmp_eq_u32_e32 vcc_lo, 0, v19
	s_or_not1_b32 s40, vcc_lo, exec_lo
	s_branch .LBB33_45
.LBB33_62:                              ;   in Loop: Header=BB33_44 Depth=2
	s_or_b32 exec_lo, exec_lo, s25
	s_xor_b32 s25, s26, -1
	s_delay_alu instid0(SALU_CYCLE_1) | instskip(NEXT) | instid1(SALU_CYCLE_1)
	s_and_saveexec_b32 s26, s25
	s_xor_b32 s25, exec_lo, s26
	s_cbranch_execz .LBB33_43
; %bb.63:                               ;   in Loop: Header=BB33_44 Depth=2
	v_lshl_add_u32 v18, v20, 2, v16
	ds_load_b32 v24, v18
	v_lshl_add_u64 v[18:19], v[8:9], 3, s[8:9]
	global_load_b64 v[20:21], v[18:19], off
	s_wait_dscnt 0x0
	global_load_b64 v[22:23], v24, s[8:9] scale_offset
	s_wait_loadcnt 0x0
	s_wait_xcnt 0x1
	v_pk_fma_f32 v[18:19], v[10:11], v[20:21], v[22:23] op_sel_hi:[1,0,1] neg_lo:[1,0,0] neg_hi:[1,0,0]
	s_delay_alu instid0(VALU_DEP_1)
	v_pk_fma_f32 v[18:19], v[12:13], v[20:21], v[18:19] op_sel:[0,1,0]
	global_store_b64 v24, v[18:19], s[8:9] scale_offset
	s_branch .LBB33_43
.LBB33_64:
	s_or_b32 exec_lo, exec_lo, s14
	s_delay_alu instid0(SALU_CYCLE_1)
	s_mov_b32 s4, exec_lo
	s_wait_storecnt 0x0
	v_cmpx_lt_i32_e32 -1, v4
	s_cbranch_execz .LBB33_86
; %bb.65:
	global_load_b64 v[6:7], v4, s[8:9] scale_offset
	v_mov_b32_e32 v5, 0
                                        ; implicit-def: $vgpr10
	s_mov_b32 s2, exec_lo
	s_wait_loadcnt 0x0
	v_cmp_gt_f32_e32 vcc_lo, 0, v6
	v_cndmask_b32_e64 v8, v6, -v6, vcc_lo
	v_cmp_gt_f32_e32 vcc_lo, 0, v7
	v_cndmask_b32_e64 v9, v7, -v7, vcc_lo
	s_delay_alu instid0(VALU_DEP_1)
	v_cmpx_ngt_f32_e32 v8, v9
	s_xor_b32 s5, exec_lo, s2
	s_cbranch_execz .LBB33_69
; %bb.66:
	v_mov_b32_e32 v10, 0
	s_mov_b32 s6, exec_lo
	v_cmpx_neq_f32_e32 0, v7
	s_cbranch_execz .LBB33_68
; %bb.67:
	v_div_scale_f32 v10, null, v9, v9, v8
	v_div_scale_f32 v13, vcc_lo, v8, v9, v8
	s_delay_alu instid0(VALU_DEP_2) | instskip(SKIP_1) | instid1(TRANS32_DEP_1)
	v_rcp_f32_e32 v11, v10
	v_nop
	v_fma_f32 v12, -v10, v11, 1.0
	s_delay_alu instid0(VALU_DEP_1) | instskip(NEXT) | instid1(VALU_DEP_1)
	v_fmac_f32_e32 v11, v12, v11
	v_mul_f32_e32 v12, v13, v11
	s_delay_alu instid0(VALU_DEP_1) | instskip(NEXT) | instid1(VALU_DEP_1)
	v_fma_f32 v16, -v10, v12, v13
	v_fmac_f32_e32 v12, v16, v11
	s_delay_alu instid0(VALU_DEP_1) | instskip(NEXT) | instid1(VALU_DEP_1)
	v_fma_f32 v10, -v10, v12, v13
	v_div_fmas_f32 v10, v10, v11, v12
	s_delay_alu instid0(VALU_DEP_1) | instskip(NEXT) | instid1(VALU_DEP_1)
	v_div_fixup_f32 v8, v10, v9, v8
	v_fma_f32 v8, v8, v8, 1.0
	s_delay_alu instid0(VALU_DEP_1) | instskip(SKIP_1) | instid1(VALU_DEP_2)
	v_mul_f32_e32 v10, 0x4f800000, v8
	v_cmp_gt_f32_e32 vcc_lo, 0xf800000, v8
	v_cndmask_b32_e32 v8, v8, v10, vcc_lo
	s_delay_alu instid0(VALU_DEP_1) | instskip(SKIP_1) | instid1(TRANS32_DEP_1)
	v_sqrt_f32_e32 v10, v8
	v_nop
	v_dual_add_nc_u32 v11, -1, v10 :: v_dual_add_nc_u32 v12, 1, v10
	s_delay_alu instid0(VALU_DEP_1) | instskip(NEXT) | instid1(VALU_DEP_1)
	v_fma_f32 v13, -v11, v10, v8
	v_cmp_ge_f32_e64 s2, 0, v13
	s_delay_alu instid0(VALU_DEP_1) | instskip(NEXT) | instid1(VALU_DEP_1)
	v_dual_fma_f32 v16, -v12, v10, v8 :: v_dual_cndmask_b32 v10, v10, v11, s2
	v_cmp_lt_f32_e64 s2, 0, v16
	s_delay_alu instid0(VALU_DEP_1) | instskip(NEXT) | instid1(VALU_DEP_1)
	v_cndmask_b32_e64 v10, v10, v12, s2
	v_mul_f32_e32 v11, 0x37800000, v10
	s_delay_alu instid0(VALU_DEP_1) | instskip(SKIP_1) | instid1(VALU_DEP_2)
	v_cndmask_b32_e32 v10, v10, v11, vcc_lo
	v_cmp_class_f32_e64 vcc_lo, v8, 0x260
	v_cndmask_b32_e32 v8, v10, v8, vcc_lo
	s_delay_alu instid0(VALU_DEP_1)
	v_mul_f32_e32 v10, v9, v8
.LBB33_68:
	s_or_b32 exec_lo, exec_lo, s6
                                        ; implicit-def: $vgpr8
                                        ; implicit-def: $vgpr9
.LBB33_69:
	s_and_not1_saveexec_b32 s5, s5
	s_cbranch_execz .LBB33_71
; %bb.70:
	v_div_scale_f32 v10, null, v8, v8, v9
	v_div_scale_f32 v13, vcc_lo, v9, v8, v9
	s_delay_alu instid0(VALU_DEP_2) | instskip(SKIP_1) | instid1(TRANS32_DEP_1)
	v_rcp_f32_e32 v11, v10
	v_nop
	v_fma_f32 v12, -v10, v11, 1.0
	s_delay_alu instid0(VALU_DEP_1) | instskip(NEXT) | instid1(VALU_DEP_1)
	v_fmac_f32_e32 v11, v12, v11
	v_mul_f32_e32 v12, v13, v11
	s_delay_alu instid0(VALU_DEP_1) | instskip(NEXT) | instid1(VALU_DEP_1)
	v_fma_f32 v16, -v10, v12, v13
	v_fmac_f32_e32 v12, v16, v11
	s_delay_alu instid0(VALU_DEP_1) | instskip(NEXT) | instid1(VALU_DEP_1)
	v_fma_f32 v10, -v10, v12, v13
	v_div_fmas_f32 v10, v10, v11, v12
	s_delay_alu instid0(VALU_DEP_1) | instskip(NEXT) | instid1(VALU_DEP_1)
	v_div_fixup_f32 v9, v10, v8, v9
	v_fma_f32 v9, v9, v9, 1.0
	s_delay_alu instid0(VALU_DEP_1) | instskip(SKIP_1) | instid1(VALU_DEP_2)
	v_mul_f32_e32 v10, 0x4f800000, v9
	v_cmp_gt_f32_e32 vcc_lo, 0xf800000, v9
	v_cndmask_b32_e32 v9, v9, v10, vcc_lo
	s_delay_alu instid0(VALU_DEP_1) | instskip(SKIP_1) | instid1(TRANS32_DEP_1)
	v_sqrt_f32_e32 v10, v9
	v_nop
	v_dual_add_nc_u32 v11, -1, v10 :: v_dual_add_nc_u32 v12, 1, v10
	s_delay_alu instid0(VALU_DEP_1) | instskip(NEXT) | instid1(VALU_DEP_1)
	v_fma_f32 v13, -v11, v10, v9
	v_cmp_ge_f32_e64 s2, 0, v13
	s_delay_alu instid0(VALU_DEP_1) | instskip(NEXT) | instid1(VALU_DEP_1)
	v_dual_fma_f32 v16, -v12, v10, v9 :: v_dual_cndmask_b32 v10, v10, v11, s2
	v_cmp_lt_f32_e64 s2, 0, v16
	s_delay_alu instid0(VALU_DEP_1) | instskip(NEXT) | instid1(VALU_DEP_1)
	v_cndmask_b32_e64 v10, v10, v12, s2
	v_mul_f32_e32 v11, 0x37800000, v10
	s_delay_alu instid0(VALU_DEP_1) | instskip(SKIP_1) | instid1(VALU_DEP_2)
	v_cndmask_b32_e32 v10, v10, v11, vcc_lo
	v_cmp_class_f32_e64 vcc_lo, v9, 0x260
	v_cndmask_b32_e32 v9, v10, v9, vcc_lo
	s_delay_alu instid0(VALU_DEP_1)
	v_mul_f32_e32 v10, v8, v9
.LBB33_71:
	s_or_b32 exec_lo, exec_lo, s5
	s_delay_alu instid0(VALU_DEP_1)
	v_cvt_f64_f32_e32 v[8:9], v10
	v_cmp_ne_u32_e32 vcc_lo, 1, v15
	v_cmp_eq_u32_e64 s2, 0, v14
	s_mov_b32 s5, -1
	s_cbranch_vccnz .LBB33_75
; %bb.72:
	v_cvt_f64_f32_e32 v[10:11], s29
	s_cmp_eq_u64 s[20:21], 8
	s_cselect_b32 vcc_lo, -1, 0
	s_delay_alu instid0(VALU_DEP_1) | instskip(NEXT) | instid1(VALU_DEP_1)
	v_dual_cndmask_b32 v3, v11, v3 :: v_dual_cndmask_b32 v2, v10, v2
	v_cmp_ge_f64_e32 vcc_lo, v[2:3], v[8:9]
	s_and_b32 s6, s2, vcc_lo
	s_delay_alu instid0(SALU_CYCLE_1)
	s_and_saveexec_b32 s5, s6
	s_cbranch_execz .LBB33_74
; %bb.73:
	v_lshl_add_u64 v[2:3], v[4:5], 3, s[8:9]
	v_dual_mov_b32 v4, s3 :: v_dual_mov_b32 v5, s22
	global_store_b64 v[2:3], v[4:5], off
	global_wb scope:SCOPE_DEV
	s_wait_storecnt 0x0
	global_inv scope:SCOPE_DEV
.LBB33_74:
	s_wait_xcnt 0x0
	s_or_b32 exec_lo, exec_lo, s5
	s_mov_b32 s5, 0
.LBB33_75:
	s_delay_alu instid0(SALU_CYCLE_1)
	s_and_not1_b32 vcc_lo, exec_lo, s5
	s_cbranch_vccnz .LBB33_86
; %bb.76:
	s_load_b64 s[0:1], s[0:1], 0x48
	v_add_nc_u32_e32 v2, s28, v0
	s_wait_kmcnt 0x0
	v_cmp_ge_f64_e32 vcc_lo, s[0:1], v[8:9]
	s_and_b32 s1, s2, vcc_lo
	s_delay_alu instid0(SALU_CYCLE_1)
	s_and_saveexec_b32 s0, s1
	s_cbranch_execz .LBB33_81
; %bb.77:
	s_mov_b32 s3, exec_lo
	s_brev_b32 s1, -2
.LBB33_78:                              ; =>This Inner Loop Header: Depth=1
	s_ctz_i32_b32 s5, s3
	s_delay_alu instid0(SALU_CYCLE_1) | instskip(SKIP_1) | instid1(SALU_CYCLE_1)
	v_readlane_b32 s6, v2, s5
	s_lshl_b32 s5, 1, s5
	s_and_not1_b32 s3, s3, s5
	s_min_i32 s1, s1, s6
	s_cmp_lg_u32 s3, 0
	s_cbranch_scc1 .LBB33_78
; %bb.79:
	v_mbcnt_lo_u32_b32 v3, exec_lo, 0
	s_mov_b32 s3, exec_lo
	s_delay_alu instid0(VALU_DEP_1)
	v_cmpx_eq_u32_e32 0, v3
	s_xor_b32 s3, exec_lo, s3
	s_cbranch_execz .LBB33_81
; %bb.80:
	v_dual_mov_b32 v3, 0 :: v_dual_mov_b32 v4, s1
	global_atomic_min_i32 v3, v4, s[18:19] scope:SCOPE_DEV
.LBB33_81:
	s_wait_xcnt 0x0
	s_or_b32 exec_lo, exec_lo, s0
	v_cmp_eq_f32_e32 vcc_lo, 0, v6
	v_cmp_eq_f32_e64 s0, 0, v7
	s_and_b32 s0, vcc_lo, s0
	s_delay_alu instid0(SALU_CYCLE_1) | instskip(NEXT) | instid1(SALU_CYCLE_1)
	s_and_b32 s0, s2, s0
	s_and_b32 exec_lo, exec_lo, s0
	s_cbranch_execz .LBB33_86
; %bb.82:
	s_mov_b32 s1, exec_lo
	s_brev_b32 s0, -2
.LBB33_83:                              ; =>This Inner Loop Header: Depth=1
	s_ctz_i32_b32 s2, s1
	s_delay_alu instid0(SALU_CYCLE_1) | instskip(SKIP_1) | instid1(SALU_CYCLE_1)
	v_readlane_b32 s3, v2, s2
	s_lshl_b32 s2, 1, s2
	s_and_not1_b32 s1, s1, s2
	s_min_i32 s0, s0, s3
	s_cmp_lg_u32 s1, 0
	s_cbranch_scc1 .LBB33_83
; %bb.84:
	v_mbcnt_lo_u32_b32 v2, exec_lo, 0
	s_mov_b32 s1, exec_lo
	s_delay_alu instid0(VALU_DEP_1)
	v_cmpx_eq_u32_e32 0, v2
	s_xor_b32 s1, exec_lo, s1
	s_cbranch_execz .LBB33_86
; %bb.85:
	v_dual_mov_b32 v2, 0 :: v_dual_mov_b32 v3, s0
	global_atomic_min_i32 v2, v3, s[16:17] scope:SCOPE_DEV
.LBB33_86:
	s_wait_xcnt 0x0
	s_or_b32 exec_lo, exec_lo, s4
	v_cmp_eq_u32_e32 vcc_lo, 0, v14
	global_wb scope:SCOPE_DEV
	s_wait_loadcnt 0x0
	s_wait_storecnt 0x0
	global_inv scope:SCOPE_DEV
	s_and_b32 exec_lo, exec_lo, vcc_lo
	s_cbranch_execz .LBB33_88
; %bb.87:
	v_lshl_add_u64 v[0:1], v[0:1], 2, s[12:13]
	v_mov_b32_e32 v2, 1
	global_wb scope:SCOPE_DEV
	s_wait_loadcnt 0x0
	s_wait_storecnt 0x0
	global_store_b32 v[0:1], v2, off scope:SCOPE_DEV
.LBB33_88:
	s_endpgm
	.section	.rodata,"a",@progbits
	.p2align	6, 0x0
	.amdhsa_kernel _ZN9rocsparseL12csrilu0_hashILj256ELj64ELj1E21rocsparse_complex_numIfEEEviPKiS4_PT2_S4_PiS4_S7_S7_d21rocsparse_index_base_imNS_24const_host_device_scalarIfEENS9_IdEENS9_IS5_EEb
		.amdhsa_group_segment_fixed_size 2048
		.amdhsa_private_segment_fixed_size 0
		.amdhsa_kernarg_size 124
		.amdhsa_user_sgpr_count 2
		.amdhsa_user_sgpr_dispatch_ptr 0
		.amdhsa_user_sgpr_queue_ptr 0
		.amdhsa_user_sgpr_kernarg_segment_ptr 1
		.amdhsa_user_sgpr_dispatch_id 0
		.amdhsa_user_sgpr_kernarg_preload_length 0
		.amdhsa_user_sgpr_kernarg_preload_offset 0
		.amdhsa_user_sgpr_private_segment_size 0
		.amdhsa_wavefront_size32 1
		.amdhsa_uses_dynamic_stack 0
		.amdhsa_enable_private_segment 0
		.amdhsa_system_sgpr_workgroup_id_x 1
		.amdhsa_system_sgpr_workgroup_id_y 0
		.amdhsa_system_sgpr_workgroup_id_z 0
		.amdhsa_system_sgpr_workgroup_info 0
		.amdhsa_system_vgpr_workitem_id 0
		.amdhsa_next_free_vgpr 25
		.amdhsa_next_free_sgpr 42
		.amdhsa_named_barrier_count 0
		.amdhsa_reserve_vcc 1
		.amdhsa_float_round_mode_32 0
		.amdhsa_float_round_mode_16_64 0
		.amdhsa_float_denorm_mode_32 3
		.amdhsa_float_denorm_mode_16_64 3
		.amdhsa_fp16_overflow 0
		.amdhsa_memory_ordered 1
		.amdhsa_forward_progress 1
		.amdhsa_inst_pref_size 27
		.amdhsa_round_robin_scheduling 0
		.amdhsa_exception_fp_ieee_invalid_op 0
		.amdhsa_exception_fp_denorm_src 0
		.amdhsa_exception_fp_ieee_div_zero 0
		.amdhsa_exception_fp_ieee_overflow 0
		.amdhsa_exception_fp_ieee_underflow 0
		.amdhsa_exception_fp_ieee_inexact 0
		.amdhsa_exception_int_div_zero 0
	.end_amdhsa_kernel
	.section	.text._ZN9rocsparseL12csrilu0_hashILj256ELj64ELj1E21rocsparse_complex_numIfEEEviPKiS4_PT2_S4_PiS4_S7_S7_d21rocsparse_index_base_imNS_24const_host_device_scalarIfEENS9_IdEENS9_IS5_EEb,"axG",@progbits,_ZN9rocsparseL12csrilu0_hashILj256ELj64ELj1E21rocsparse_complex_numIfEEEviPKiS4_PT2_S4_PiS4_S7_S7_d21rocsparse_index_base_imNS_24const_host_device_scalarIfEENS9_IdEENS9_IS5_EEb,comdat
.Lfunc_end33:
	.size	_ZN9rocsparseL12csrilu0_hashILj256ELj64ELj1E21rocsparse_complex_numIfEEEviPKiS4_PT2_S4_PiS4_S7_S7_d21rocsparse_index_base_imNS_24const_host_device_scalarIfEENS9_IdEENS9_IS5_EEb, .Lfunc_end33-_ZN9rocsparseL12csrilu0_hashILj256ELj64ELj1E21rocsparse_complex_numIfEEEviPKiS4_PT2_S4_PiS4_S7_S7_d21rocsparse_index_base_imNS_24const_host_device_scalarIfEENS9_IdEENS9_IS5_EEb
                                        ; -- End function
	.set _ZN9rocsparseL12csrilu0_hashILj256ELj64ELj1E21rocsparse_complex_numIfEEEviPKiS4_PT2_S4_PiS4_S7_S7_d21rocsparse_index_base_imNS_24const_host_device_scalarIfEENS9_IdEENS9_IS5_EEb.num_vgpr, 25
	.set _ZN9rocsparseL12csrilu0_hashILj256ELj64ELj1E21rocsparse_complex_numIfEEEviPKiS4_PT2_S4_PiS4_S7_S7_d21rocsparse_index_base_imNS_24const_host_device_scalarIfEENS9_IdEENS9_IS5_EEb.num_agpr, 0
	.set _ZN9rocsparseL12csrilu0_hashILj256ELj64ELj1E21rocsparse_complex_numIfEEEviPKiS4_PT2_S4_PiS4_S7_S7_d21rocsparse_index_base_imNS_24const_host_device_scalarIfEENS9_IdEENS9_IS5_EEb.numbered_sgpr, 42
	.set _ZN9rocsparseL12csrilu0_hashILj256ELj64ELj1E21rocsparse_complex_numIfEEEviPKiS4_PT2_S4_PiS4_S7_S7_d21rocsparse_index_base_imNS_24const_host_device_scalarIfEENS9_IdEENS9_IS5_EEb.num_named_barrier, 0
	.set _ZN9rocsparseL12csrilu0_hashILj256ELj64ELj1E21rocsparse_complex_numIfEEEviPKiS4_PT2_S4_PiS4_S7_S7_d21rocsparse_index_base_imNS_24const_host_device_scalarIfEENS9_IdEENS9_IS5_EEb.private_seg_size, 0
	.set _ZN9rocsparseL12csrilu0_hashILj256ELj64ELj1E21rocsparse_complex_numIfEEEviPKiS4_PT2_S4_PiS4_S7_S7_d21rocsparse_index_base_imNS_24const_host_device_scalarIfEENS9_IdEENS9_IS5_EEb.uses_vcc, 1
	.set _ZN9rocsparseL12csrilu0_hashILj256ELj64ELj1E21rocsparse_complex_numIfEEEviPKiS4_PT2_S4_PiS4_S7_S7_d21rocsparse_index_base_imNS_24const_host_device_scalarIfEENS9_IdEENS9_IS5_EEb.uses_flat_scratch, 0
	.set _ZN9rocsparseL12csrilu0_hashILj256ELj64ELj1E21rocsparse_complex_numIfEEEviPKiS4_PT2_S4_PiS4_S7_S7_d21rocsparse_index_base_imNS_24const_host_device_scalarIfEENS9_IdEENS9_IS5_EEb.has_dyn_sized_stack, 0
	.set _ZN9rocsparseL12csrilu0_hashILj256ELj64ELj1E21rocsparse_complex_numIfEEEviPKiS4_PT2_S4_PiS4_S7_S7_d21rocsparse_index_base_imNS_24const_host_device_scalarIfEENS9_IdEENS9_IS5_EEb.has_recursion, 0
	.set _ZN9rocsparseL12csrilu0_hashILj256ELj64ELj1E21rocsparse_complex_numIfEEEviPKiS4_PT2_S4_PiS4_S7_S7_d21rocsparse_index_base_imNS_24const_host_device_scalarIfEENS9_IdEENS9_IS5_EEb.has_indirect_call, 0
	.section	.AMDGPU.csdata,"",@progbits
; Kernel info:
; codeLenInByte = 3452
; TotalNumSgprs: 44
; NumVgprs: 25
; ScratchSize: 0
; MemoryBound: 0
; FloatMode: 240
; IeeeMode: 1
; LDSByteSize: 2048 bytes/workgroup (compile time only)
; SGPRBlocks: 0
; VGPRBlocks: 1
; NumSGPRsForWavesPerEU: 44
; NumVGPRsForWavesPerEU: 25
; NamedBarCnt: 0
; Occupancy: 16
; WaveLimiterHint : 1
; COMPUTE_PGM_RSRC2:SCRATCH_EN: 0
; COMPUTE_PGM_RSRC2:USER_SGPR: 2
; COMPUTE_PGM_RSRC2:TRAP_HANDLER: 0
; COMPUTE_PGM_RSRC2:TGID_X_EN: 1
; COMPUTE_PGM_RSRC2:TGID_Y_EN: 0
; COMPUTE_PGM_RSRC2:TGID_Z_EN: 0
; COMPUTE_PGM_RSRC2:TIDIG_COMP_CNT: 0
	.section	.text._ZN9rocsparseL12csrilu0_hashILj256ELj64ELj2E21rocsparse_complex_numIfEEEviPKiS4_PT2_S4_PiS4_S7_S7_d21rocsparse_index_base_imNS_24const_host_device_scalarIfEENS9_IdEENS9_IS5_EEb,"axG",@progbits,_ZN9rocsparseL12csrilu0_hashILj256ELj64ELj2E21rocsparse_complex_numIfEEEviPKiS4_PT2_S4_PiS4_S7_S7_d21rocsparse_index_base_imNS_24const_host_device_scalarIfEENS9_IdEENS9_IS5_EEb,comdat
	.globl	_ZN9rocsparseL12csrilu0_hashILj256ELj64ELj2E21rocsparse_complex_numIfEEEviPKiS4_PT2_S4_PiS4_S7_S7_d21rocsparse_index_base_imNS_24const_host_device_scalarIfEENS9_IdEENS9_IS5_EEb ; -- Begin function _ZN9rocsparseL12csrilu0_hashILj256ELj64ELj2E21rocsparse_complex_numIfEEEviPKiS4_PT2_S4_PiS4_S7_S7_d21rocsparse_index_base_imNS_24const_host_device_scalarIfEENS9_IdEENS9_IS5_EEb
	.p2align	8
	.type	_ZN9rocsparseL12csrilu0_hashILj256ELj64ELj2E21rocsparse_complex_numIfEEEviPKiS4_PT2_S4_PiS4_S7_S7_d21rocsparse_index_base_imNS_24const_host_device_scalarIfEENS9_IdEENS9_IS5_EEb,@function
_ZN9rocsparseL12csrilu0_hashILj256ELj64ELj2E21rocsparse_complex_numIfEEEviPKiS4_PT2_S4_PiS4_S7_S7_d21rocsparse_index_base_imNS_24const_host_device_scalarIfEENS9_IdEENS9_IS5_EEb: ; @_ZN9rocsparseL12csrilu0_hashILj256ELj64ELj2E21rocsparse_complex_numIfEEEviPKiS4_PT2_S4_PiS4_S7_S7_d21rocsparse_index_base_imNS_24const_host_device_scalarIfEENS9_IdEENS9_IS5_EEb
; %bb.0:
	s_clause 0x2
	s_load_b32 s2, s[0:1], 0x78
	s_load_b64 s[28:29], s[0:1], 0x50
	s_load_b256 s[20:27], s[0:1], 0x58
	s_wait_kmcnt 0x0
	s_bitcmp1_b32 s2, 0
	s_cselect_b32 s4, -1, 0
	s_cmp_eq_u32 s29, 0
	s_cselect_b32 s2, -1, 0
	s_cmp_lg_u32 s29, 0
	s_cselect_b32 s5, -1, 0
	s_or_b32 s7, s2, s4
	s_delay_alu instid0(SALU_CYCLE_1)
	s_xor_b32 s6, s7, -1
	s_and_b32 s2, s2, exec_lo
	s_cselect_b32 s3, 0, s25
	s_cselect_b32 s2, 0, s24
	;; [unrolled: 1-line block ×3, first 2 shown]
	s_and_b32 vcc_lo, exec_lo, s7
	s_cbranch_vccnz .LBB34_2
; %bb.1:
	s_load_b32 s29, s[22:23], 0x0
	s_mov_b64 s[2:3], s[24:25]
.LBB34_2:
	s_delay_alu instid0(SALU_CYCLE_1)
	v_mov_b64_e32 v[2:3], s[2:3]
	s_and_not1_b32 vcc_lo, exec_lo, s6
	s_cbranch_vccnz .LBB34_4
; %bb.3:
	v_mov_b32_e32 v1, 0
	flat_load_b64 v[2:3], v1, s[24:25]
.LBB34_4:
	v_cndmask_b32_e64 v15, 0, 1, s5
	s_mov_b32 s3, 0
	s_and_not1_b32 vcc_lo, exec_lo, s5
	s_wait_xcnt 0x0
	s_mov_b32 s22, 0
	s_cbranch_vccnz .LBB34_10
; %bb.5:
	s_xor_b32 s2, s4, -1
	s_mov_b32 s3, s26
	v_cndmask_b32_e64 v1, 0, 1, s2
	s_and_not1_b32 vcc_lo, exec_lo, s2
	s_cbranch_vccnz .LBB34_7
; %bb.6:
	s_load_b32 s3, s[26:27], 0x0
.LBB34_7:
	s_delay_alu instid0(VALU_DEP_1)
	v_cmp_ne_u32_e32 vcc_lo, 1, v1
	s_cbranch_vccnz .LBB34_9
; %bb.8:
	s_wait_xcnt 0x0
	s_load_b32 s27, s[26:27], 0x4
.LBB34_9:
	s_wait_kmcnt 0x0
	s_mov_b32 s22, s27
.LBB34_10:
	s_load_b32 s2, s[0:1], 0x0
	s_bfe_u32 s4, ttmp6, 0x4000c
	v_dual_lshlrev_b32 v1, 1, v0 :: v_dual_bitop2_b32 v14, 63, v0 bitop3:0x40
	s_add_co_i32 s4, s4, 1
	s_and_b32 s5, ttmp6, 15
	s_mul_i32 s4, ttmp9, s4
	s_getreg_b32 s6, hwreg(HW_REG_IB_STS2, 6, 4)
	s_add_co_i32 s5, s5, s4
	s_cmp_eq_u32 s6, 0
	v_and_b32_e32 v9, 0x180, v1
	v_dual_lshrrev_b32 v0, 6, v0 :: v_dual_mov_b32 v4, -1
	s_cselect_b32 s4, ttmp9, s5
	s_delay_alu instid0(SALU_CYCLE_1) | instskip(NEXT) | instid1(VALU_DEP_2)
	s_lshl_b32 s4, s4, 2
	v_lshl_or_b32 v5, v9, 2, 0x800
	s_delay_alu instid0(VALU_DEP_2) | instskip(NEXT) | instid1(VALU_DEP_2)
	v_and_or_b32 v0, 0x3fffffc, s4, v0
	v_lshl_or_b32 v1, v14, 2, v5
	s_wait_kmcnt 0x0
	s_delay_alu instid0(VALU_DEP_2)
	v_cmp_gt_i32_e32 vcc_lo, s2, v0
	ds_store_2addr_stride64_b32 v1, v4, v4 offset1:1
	s_wait_loadcnt_dscnt 0x0
	s_and_saveexec_b32 s2, vcc_lo
	s_cbranch_execz .LBB34_88
; %bb.11:
	s_load_b512 s[4:19], s[0:1], 0x8
	v_lshlrev_b32_e32 v16, 2, v9
	s_mov_b32 s2, exec_lo
	s_wait_kmcnt 0x0
	global_load_b32 v0, v0, s[14:15] scale_offset
	s_wait_loadcnt 0x0
	v_ashrrev_i32_e32 v1, 31, v0
	s_delay_alu instid0(VALU_DEP_1)
	v_lshl_add_u64 v[6:7], v[0:1], 2, s[4:5]
	global_load_b64 v[10:11], v[6:7], off
	global_load_b32 v4, v0, s[10:11] scale_offset
	s_wait_loadcnt 0x1
	s_wait_xcnt 0x1
	v_subrev_nc_u32_e32 v6, s28, v10
	v_subrev_nc_u32_e32 v7, s28, v11
	s_delay_alu instid0(VALU_DEP_2) | instskip(SKIP_1) | instid1(VALU_DEP_1)
	v_add_nc_u32_e32 v8, v6, v14
	s_wait_xcnt 0x0
	v_cmpx_lt_i32_e64 v8, v7
	s_cbranch_execz .LBB34_34
; %bb.12:
	v_mov_b32_e32 v9, -1
	s_mov_b32 s14, 0
	s_branch .LBB34_14
.LBB34_13:                              ;   in Loop: Header=BB34_14 Depth=1
	s_or_b32 exec_lo, exec_lo, s15
	v_add_nc_u32_e32 v8, 64, v8
	s_delay_alu instid0(VALU_DEP_1) | instskip(SKIP_1) | instid1(SALU_CYCLE_1)
	v_cmp_ge_i32_e32 vcc_lo, v8, v7
	s_or_b32 s14, vcc_lo, s14
	s_and_not1_b32 exec_lo, exec_lo, s14
	s_cbranch_execz .LBB34_34
.LBB34_14:                              ; =>This Loop Header: Depth=1
                                        ;     Child Loop BB34_23 Depth 2
	global_load_b32 v10, v8, s[6:7] scale_offset
	v_mov_b32_e32 v11, 0x80
	s_mov_b32 s15, 0
                                        ; implicit-def: $sgpr23
                                        ; implicit-def: $sgpr24
                                        ; implicit-def: $sgpr25
	s_wait_loadcnt 0x0
	v_mul_lo_u32 v13, 0x67, v10
	s_branch .LBB34_23
.LBB34_15:                              ;   in Loop: Header=BB34_23 Depth=2
	s_or_b32 exec_lo, exec_lo, s38
	s_delay_alu instid0(SALU_CYCLE_1)
	s_or_not1_b32 s36, s36, exec_lo
	s_or_not1_b32 s37, s37, exec_lo
.LBB34_16:                              ;   in Loop: Header=BB34_23 Depth=2
	s_or_b32 exec_lo, exec_lo, s35
	s_delay_alu instid0(SALU_CYCLE_1)
	s_and_b32 s36, s36, exec_lo
	s_or_not1_b32 s35, s37, exec_lo
.LBB34_17:                              ;   in Loop: Header=BB34_23 Depth=2
	s_or_b32 exec_lo, exec_lo, s34
	s_delay_alu instid0(SALU_CYCLE_1)
	s_or_not1_b32 s34, s36, exec_lo
	s_or_not1_b32 s35, s35, exec_lo
.LBB34_18:                              ;   in Loop: Header=BB34_23 Depth=2
	s_or_b32 exec_lo, exec_lo, s33
	s_delay_alu instid0(SALU_CYCLE_1)
	s_and_b32 s34, s34, exec_lo
	s_or_not1_b32 s33, s35, exec_lo
.LBB34_19:                              ;   in Loop: Header=BB34_23 Depth=2
	s_or_b32 exec_lo, exec_lo, s31
	s_delay_alu instid0(SALU_CYCLE_1)
	s_or_not1_b32 s31, s34, exec_lo
	s_or_not1_b32 s33, s33, exec_lo
.LBB34_20:                              ;   in Loop: Header=BB34_23 Depth=2
	s_or_b32 exec_lo, exec_lo, s30
	s_delay_alu instid0(SALU_CYCLE_1)
	s_and_b32 s31, s31, exec_lo
	s_or_not1_b32 s30, s33, exec_lo
.LBB34_21:                              ;   in Loop: Header=BB34_23 Depth=2
	s_or_b32 exec_lo, exec_lo, s27
	s_delay_alu instid0(SALU_CYCLE_1)
	s_and_not1_b32 s25, s25, exec_lo
	s_and_b32 s27, s31, exec_lo
	s_and_not1_b32 s24, s24, exec_lo
	s_and_b32 s30, s30, exec_lo
	s_or_b32 s25, s25, s27
	s_or_b32 s24, s24, s30
.LBB34_22:                              ;   in Loop: Header=BB34_23 Depth=2
	s_or_b32 exec_lo, exec_lo, s26
	s_delay_alu instid0(SALU_CYCLE_1) | instskip(NEXT) | instid1(SALU_CYCLE_1)
	s_and_b32 s26, exec_lo, s24
	s_or_b32 s15, s26, s15
	s_and_not1_b32 s23, s23, exec_lo
	s_and_b32 s26, s25, exec_lo
	s_delay_alu instid0(SALU_CYCLE_1)
	s_or_b32 s23, s23, s26
	s_and_not1_b32 exec_lo, exec_lo, s15
	s_cbranch_execz .LBB34_32
.LBB34_23:                              ;   Parent Loop BB34_14 Depth=1
                                        ; =>  This Inner Loop Header: Depth=2
	s_delay_alu instid0(VALU_DEP_1) | instskip(SKIP_3) | instid1(VALU_DEP_1)
	v_and_b32_e32 v12, 0x7f, v13
	s_or_b32 s25, s25, exec_lo
	s_or_b32 s24, s24, exec_lo
	s_mov_b32 s26, exec_lo
	v_lshl_add_u32 v17, v12, 2, v5
	ds_load_b32 v18, v17
	s_wait_dscnt 0x0
	s_wait_xcnt 0x0
	v_cmpx_ne_u32_e64 v18, v10
	s_cbranch_execz .LBB34_22
; %bb.24:                               ;   in Loop: Header=BB34_23 Depth=2
	ds_cmpstore_rtn_b32 v17, v17, v10, v9
	s_mov_b32 s30, -1
	s_mov_b32 s31, 0
	s_mov_b32 s27, exec_lo
	s_wait_dscnt 0x0
	v_cmpx_ne_u32_e32 -1, v17
	s_cbranch_execz .LBB34_21
; %bb.25:                               ;   in Loop: Header=BB34_23 Depth=2
	v_add_nc_u32_e32 v12, 1, v13
	s_mov_b32 s33, -1
	s_mov_b32 s31, -1
	s_mov_b32 s30, exec_lo
	s_delay_alu instid0(VALU_DEP_1) | instskip(NEXT) | instid1(VALU_DEP_1)
	v_and_b32_e32 v12, 0x7f, v12
	v_lshl_add_u32 v17, v12, 2, v5
	ds_load_b32 v18, v17
	s_wait_dscnt 0x0
	v_cmpx_ne_u32_e64 v18, v10
	s_cbranch_execz .LBB34_20
; %bb.26:                               ;   in Loop: Header=BB34_23 Depth=2
	ds_cmpstore_rtn_b32 v17, v17, v10, v9
	s_mov_b32 s34, 0
	s_mov_b32 s31, exec_lo
	s_wait_dscnt 0x0
	v_cmpx_ne_u32_e32 -1, v17
	s_cbranch_execz .LBB34_19
; %bb.27:                               ;   in Loop: Header=BB34_23 Depth=2
	v_add_nc_u32_e32 v12, 2, v13
	s_mov_b32 s35, -1
	s_mov_b32 s34, -1
	s_mov_b32 s33, exec_lo
	s_delay_alu instid0(VALU_DEP_1) | instskip(NEXT) | instid1(VALU_DEP_1)
	v_and_b32_e32 v12, 0x7f, v12
	v_lshl_add_u32 v17, v12, 2, v5
	ds_load_b32 v18, v17
	s_wait_dscnt 0x0
	v_cmpx_ne_u32_e64 v18, v10
	s_cbranch_execz .LBB34_18
; %bb.28:                               ;   in Loop: Header=BB34_23 Depth=2
	ds_cmpstore_rtn_b32 v17, v17, v10, v9
	s_mov_b32 s36, 0
	s_mov_b32 s34, exec_lo
	s_wait_dscnt 0x0
	v_cmpx_ne_u32_e32 -1, v17
	s_cbranch_execz .LBB34_17
; %bb.29:                               ;   in Loop: Header=BB34_23 Depth=2
	v_add_nc_u32_e32 v12, 3, v13
	s_mov_b32 s37, -1
	s_mov_b32 s36, -1
	s_delay_alu instid0(VALU_DEP_1) | instskip(NEXT) | instid1(VALU_DEP_1)
	v_and_b32_e32 v12, 0x7f, v12
	v_lshl_add_u32 v17, v12, 2, v5
	ds_load_b32 v13, v17
	s_wait_dscnt 0x0
	v_cmp_ne_u32_e32 vcc_lo, v13, v10
                                        ; implicit-def: $vgpr13
	s_and_saveexec_b32 s35, vcc_lo
	s_cbranch_execz .LBB34_16
; %bb.30:                               ;   in Loop: Header=BB34_23 Depth=2
	ds_cmpstore_rtn_b32 v13, v17, v10, v9
	s_mov_b32 s36, 0
	s_wait_dscnt 0x0
	v_cmp_ne_u32_e32 vcc_lo, -1, v13
                                        ; implicit-def: $vgpr13
	s_and_saveexec_b32 s38, vcc_lo
	s_cbranch_execz .LBB34_15
; %bb.31:                               ;   in Loop: Header=BB34_23 Depth=2
	v_dual_add_nc_u32 v11, -4, v11 :: v_dual_add_nc_u32 v13, 1, v12
	s_mov_b32 s36, exec_lo
	s_delay_alu instid0(VALU_DEP_1)
	v_cmp_eq_u32_e32 vcc_lo, 0, v11
	s_or_not1_b32 s37, vcc_lo, exec_lo
	s_branch .LBB34_15
.LBB34_32:                              ;   in Loop: Header=BB34_14 Depth=1
	s_or_b32 exec_lo, exec_lo, s15
	s_xor_b32 s15, s23, -1
	s_delay_alu instid0(SALU_CYCLE_1) | instskip(NEXT) | instid1(SALU_CYCLE_1)
	s_and_saveexec_b32 s23, s15
	s_xor_b32 s15, exec_lo, s23
	s_cbranch_execz .LBB34_13
; %bb.33:                               ;   in Loop: Header=BB34_14 Depth=1
	v_lshl_add_u32 v10, v12, 2, v16
	ds_store_b32 v10, v8
	s_branch .LBB34_13
.LBB34_34:
	s_or_b32 exec_lo, exec_lo, s2
	s_delay_alu instid0(SALU_CYCLE_1)
	s_mov_b32 s14, exec_lo
	s_wait_loadcnt_dscnt 0x0
	v_cmpx_lt_i32_e64 v6, v4
	s_cbranch_execz .LBB34_64
; %bb.35:
	v_add_nc_u32_e32 v17, 1, v14
	s_mov_b32 s15, 0
	s_branch .LBB34_38
.LBB34_36:                              ;   in Loop: Header=BB34_38 Depth=1
	s_or_b32 exec_lo, exec_lo, s23
	v_add_nc_u32_e32 v6, 1, v6
	s_delay_alu instid0(VALU_DEP_1)
	v_cmp_ge_i32_e32 vcc_lo, v6, v4
	s_or_not1_b32 s23, vcc_lo, exec_lo
.LBB34_37:                              ;   in Loop: Header=BB34_38 Depth=1
	s_or_b32 exec_lo, exec_lo, s2
	s_delay_alu instid0(SALU_CYCLE_1) | instskip(NEXT) | instid1(SALU_CYCLE_1)
	s_and_b32 s2, exec_lo, s23
	s_or_b32 s15, s2, s15
	s_delay_alu instid0(SALU_CYCLE_1)
	s_and_not1_b32 exec_lo, exec_lo, s15
	s_cbranch_execz .LBB34_64
.LBB34_38:                              ; =>This Loop Header: Depth=1
                                        ;     Child Loop BB34_39 Depth 2
                                        ;     Child Loop BB34_44 Depth 2
                                        ;       Child Loop BB34_53 Depth 3
	s_clause 0x1
	global_load_b32 v7, v6, s[6:7] scale_offset
	global_load_b64 v[8:9], v6, s[8:9] scale_offset
	s_mov_b32 s2, 0
	s_wait_loadcnt 0x1
	v_subrev_nc_u32_e32 v10, s28, v7
	v_ashrrev_i32_e32 v7, 31, v6
	s_clause 0x1
	global_load_b32 v19, v10, s[4:5] offset:4 scale_offset
	global_load_b32 v18, v10, s[10:11] scale_offset
	v_ashrrev_i32_e32 v11, 31, v10
	v_lshl_add_u64 v[12:13], v[6:7], 3, s[8:9]
	s_wait_xcnt 0x0
	s_delay_alu instid0(VALU_DEP_2)
	v_lshl_add_u64 v[10:11], v[10:11], 2, s[12:13]
.LBB34_39:                              ;   Parent Loop BB34_38 Depth=1
                                        ; =>  This Inner Loop Header: Depth=2
	global_load_b32 v7, v[10:11], off scope:SCOPE_DEV
	s_wait_loadcnt 0x0
	v_cmp_ne_u32_e32 vcc_lo, 0, v7
	s_or_b32 s2, vcc_lo, s2
	s_wait_xcnt 0x0
	s_and_not1_b32 exec_lo, exec_lo, s2
	s_cbranch_execnz .LBB34_39
; %bb.40:                               ;   in Loop: Header=BB34_38 Depth=1
	s_or_b32 exec_lo, exec_lo, s2
	v_subrev_nc_u32_e32 v7, s28, v19
	v_cmp_eq_u32_e32 vcc_lo, -1, v18
	global_inv scope:SCOPE_DEV
	s_mov_b32 s23, -1
	v_add_nc_u32_e32 v10, -1, v7
	s_delay_alu instid0(VALU_DEP_1)
	v_cndmask_b32_e32 v18, v18, v10, vcc_lo
	global_load_b64 v[10:11], v18, s[8:9] scale_offset
	s_wait_loadcnt 0x0
	v_cmp_neq_f32_e32 vcc_lo, 0, v10
	v_cmp_neq_f32_e64 s2, 0, v11
	s_or_b32 s24, vcc_lo, s2
	s_wait_xcnt 0x0
	s_and_saveexec_b32 s2, s24
	s_cbranch_execz .LBB34_37
; %bb.41:                               ;   in Loop: Header=BB34_38 Depth=1
	v_mul_f32_e32 v19, v11, v11
	s_mov_b32 s23, exec_lo
	s_delay_alu instid0(VALU_DEP_1) | instskip(NEXT) | instid1(VALU_DEP_1)
	v_fmac_f32_e32 v19, v10, v10
	v_div_scale_f32 v20, null, v19, v19, 1.0
	v_div_scale_f32 v23, vcc_lo, 1.0, v19, 1.0
	s_delay_alu instid0(VALU_DEP_2) | instskip(SKIP_1) | instid1(TRANS32_DEP_1)
	v_rcp_f32_e32 v21, v20
	v_nop
	v_fma_f32 v22, -v20, v21, 1.0
	s_delay_alu instid0(VALU_DEP_1) | instskip(NEXT) | instid1(VALU_DEP_1)
	v_fmac_f32_e32 v21, v22, v21
	v_mul_f32_e32 v22, v23, v21
	s_delay_alu instid0(VALU_DEP_1) | instskip(NEXT) | instid1(VALU_DEP_1)
	v_fma_f32 v24, -v20, v22, v23
	v_fmac_f32_e32 v22, v24, v21
	s_delay_alu instid0(VALU_DEP_1) | instskip(NEXT) | instid1(VALU_DEP_1)
	v_dual_fma_f32 v23, -v20, v22, v23 :: v_dual_mov_b32 v20, v11
	v_div_fmas_f32 v11, v23, v21, v22
	s_delay_alu instid0(VALU_DEP_2) | instskip(NEXT) | instid1(VALU_DEP_2)
	v_pk_mul_f32 v[20:21], v[8:9], v[20:21] op_sel:[1,0] op_sel_hi:[0,0] neg_hi:[1,0]
	v_div_fixup_f32 v22, v11, v19, 1.0
	s_delay_alu instid0(VALU_DEP_2) | instskip(SKIP_1) | instid1(VALU_DEP_2)
	v_pk_fma_f32 v[10:11], v[8:9], v[10:11], v[20:21] op_sel_hi:[1,0,1]
	v_add_nc_u32_e32 v8, v17, v18
	v_pk_mul_f32 v[10:11], v[10:11], v[22:23] op_sel_hi:[1,0]
	global_store_b64 v[12:13], v[10:11], off
	s_wait_xcnt 0x0
	v_cmpx_lt_i32_e64 v8, v7
	s_cbranch_execz .LBB34_36
; %bb.42:                               ;   in Loop: Header=BB34_38 Depth=1
	v_xor_b32_e32 v13, 0x80000000, v10
	v_mov_b32_e32 v12, v11
	s_mov_b32 s24, 0
	s_branch .LBB34_44
.LBB34_43:                              ;   in Loop: Header=BB34_44 Depth=2
	s_wait_xcnt 0x0
	s_or_b32 exec_lo, exec_lo, s25
	v_add_nc_u32_e32 v8, 64, v8
	s_delay_alu instid0(VALU_DEP_1) | instskip(SKIP_1) | instid1(SALU_CYCLE_1)
	v_cmp_ge_i32_e32 vcc_lo, v8, v7
	s_or_b32 s24, vcc_lo, s24
	s_and_not1_b32 exec_lo, exec_lo, s24
	s_cbranch_execz .LBB34_36
.LBB34_44:                              ;   Parent Loop BB34_38 Depth=1
                                        ; =>  This Loop Header: Depth=2
                                        ;       Child Loop BB34_53 Depth 3
	global_load_b32 v18, v8, s[6:7] scale_offset
	v_ashrrev_i32_e32 v9, 31, v8
	v_mov_b32_e32 v19, 0x80
	s_mov_b32 s25, 0
                                        ; implicit-def: $sgpr26
                                        ; implicit-def: $sgpr27
                                        ; implicit-def: $sgpr30
	s_wait_loadcnt 0x0
	v_mul_lo_u32 v21, 0x67, v18
	s_branch .LBB34_53
.LBB34_45:                              ;   in Loop: Header=BB34_53 Depth=3
	s_or_b32 exec_lo, exec_lo, s41
	s_delay_alu instid0(SALU_CYCLE_1)
	s_or_not1_b32 s39, s39, exec_lo
	s_or_not1_b32 s40, s40, exec_lo
.LBB34_46:                              ;   in Loop: Header=BB34_53 Depth=3
	s_or_b32 exec_lo, exec_lo, s38
	s_delay_alu instid0(SALU_CYCLE_1)
	s_and_b32 s39, s39, exec_lo
	s_or_not1_b32 s38, s40, exec_lo
.LBB34_47:                              ;   in Loop: Header=BB34_53 Depth=3
	s_or_b32 exec_lo, exec_lo, s37
	s_delay_alu instid0(SALU_CYCLE_1)
	s_or_not1_b32 s37, s39, exec_lo
	s_or_not1_b32 s38, s38, exec_lo
.LBB34_48:                              ;   in Loop: Header=BB34_53 Depth=3
	s_or_b32 exec_lo, exec_lo, s36
	s_delay_alu instid0(SALU_CYCLE_1)
	s_and_b32 s37, s37, exec_lo
	s_or_not1_b32 s36, s38, exec_lo
.LBB34_49:                              ;   in Loop: Header=BB34_53 Depth=3
	s_or_b32 exec_lo, exec_lo, s35
	s_delay_alu instid0(SALU_CYCLE_1)
	s_or_not1_b32 s35, s37, exec_lo
	s_or_not1_b32 s36, s36, exec_lo
.LBB34_50:                              ;   in Loop: Header=BB34_53 Depth=3
	s_or_b32 exec_lo, exec_lo, s34
	s_delay_alu instid0(SALU_CYCLE_1)
	s_and_b32 s35, s35, exec_lo
	s_or_not1_b32 s34, s36, exec_lo
.LBB34_51:                              ;   in Loop: Header=BB34_53 Depth=3
	s_or_b32 exec_lo, exec_lo, s33
	s_delay_alu instid0(SALU_CYCLE_1)
	s_and_not1_b32 s30, s30, exec_lo
	s_and_b32 s33, s35, exec_lo
	s_and_not1_b32 s27, s27, exec_lo
	s_and_b32 s34, s34, exec_lo
	s_or_b32 s30, s30, s33
	s_or_b32 s27, s27, s34
.LBB34_52:                              ;   in Loop: Header=BB34_53 Depth=3
	s_or_b32 exec_lo, exec_lo, s31
	s_delay_alu instid0(SALU_CYCLE_1) | instskip(NEXT) | instid1(SALU_CYCLE_1)
	s_and_b32 s31, exec_lo, s27
	s_or_b32 s25, s31, s25
	s_and_not1_b32 s26, s26, exec_lo
	s_and_b32 s31, s30, exec_lo
	s_delay_alu instid0(SALU_CYCLE_1)
	s_or_b32 s26, s26, s31
	s_and_not1_b32 exec_lo, exec_lo, s25
	s_cbranch_execz .LBB34_62
.LBB34_53:                              ;   Parent Loop BB34_38 Depth=1
                                        ;     Parent Loop BB34_44 Depth=2
                                        ; =>    This Inner Loop Header: Depth=3
	s_delay_alu instid0(VALU_DEP_1) | instskip(SKIP_3) | instid1(VALU_DEP_1)
	v_and_b32_e32 v20, 0x7f, v21
	s_or_b32 s30, s30, exec_lo
	s_or_b32 s27, s27, exec_lo
	s_mov_b32 s31, exec_lo
	v_lshl_add_u32 v22, v20, 2, v5
	ds_load_b32 v22, v22
	s_wait_dscnt 0x0
	s_wait_xcnt 0x0
	v_cmpx_ne_u32_e32 -1, v22
	s_cbranch_execz .LBB34_52
; %bb.54:                               ;   in Loop: Header=BB34_53 Depth=3
	s_mov_b32 s34, -1
	s_mov_b32 s35, 0
	s_mov_b32 s33, exec_lo
	v_cmpx_ne_u32_e64 v22, v18
	s_cbranch_execz .LBB34_51
; %bb.55:                               ;   in Loop: Header=BB34_53 Depth=3
	v_add_nc_u32_e32 v20, 1, v21
	s_mov_b32 s36, -1
	s_mov_b32 s35, -1
	s_mov_b32 s34, exec_lo
	s_delay_alu instid0(VALU_DEP_1) | instskip(NEXT) | instid1(VALU_DEP_1)
	v_and_b32_e32 v20, 0x7f, v20
	v_lshl_add_u32 v22, v20, 2, v5
	ds_load_b32 v22, v22
	s_wait_dscnt 0x0
	v_cmpx_ne_u32_e32 -1, v22
	s_cbranch_execz .LBB34_50
; %bb.56:                               ;   in Loop: Header=BB34_53 Depth=3
	s_mov_b32 s37, 0
	s_mov_b32 s35, exec_lo
	v_cmpx_ne_u32_e64 v22, v18
	s_cbranch_execz .LBB34_49
; %bb.57:                               ;   in Loop: Header=BB34_53 Depth=3
	v_add_nc_u32_e32 v20, 2, v21
	s_mov_b32 s38, -1
	s_mov_b32 s37, -1
	s_mov_b32 s36, exec_lo
	s_delay_alu instid0(VALU_DEP_1) | instskip(NEXT) | instid1(VALU_DEP_1)
	v_and_b32_e32 v20, 0x7f, v20
	v_lshl_add_u32 v22, v20, 2, v5
	ds_load_b32 v22, v22
	s_wait_dscnt 0x0
	v_cmpx_ne_u32_e32 -1, v22
	s_cbranch_execz .LBB34_48
; %bb.58:                               ;   in Loop: Header=BB34_53 Depth=3
	s_mov_b32 s39, 0
	s_mov_b32 s37, exec_lo
	v_cmpx_ne_u32_e64 v22, v18
	s_cbranch_execz .LBB34_47
; %bb.59:                               ;   in Loop: Header=BB34_53 Depth=3
	v_add_nc_u32_e32 v20, 3, v21
	s_mov_b32 s40, -1
	s_mov_b32 s39, -1
	s_mov_b32 s38, exec_lo
	s_delay_alu instid0(VALU_DEP_1) | instskip(NEXT) | instid1(VALU_DEP_1)
	v_and_b32_e32 v20, 0x7f, v20
	v_lshl_add_u32 v21, v20, 2, v5
	ds_load_b32 v22, v21
                                        ; implicit-def: $vgpr21
	s_wait_dscnt 0x0
	v_cmpx_ne_u32_e32 -1, v22
	s_cbranch_execz .LBB34_46
; %bb.60:                               ;   in Loop: Header=BB34_53 Depth=3
	s_mov_b32 s39, 0
	s_mov_b32 s41, exec_lo
                                        ; implicit-def: $vgpr21
	v_cmpx_ne_u32_e64 v22, v18
	s_cbranch_execz .LBB34_45
; %bb.61:                               ;   in Loop: Header=BB34_53 Depth=3
	v_dual_add_nc_u32 v19, -4, v19 :: v_dual_add_nc_u32 v21, 1, v20
	s_mov_b32 s39, exec_lo
	s_delay_alu instid0(VALU_DEP_1)
	v_cmp_eq_u32_e32 vcc_lo, 0, v19
	s_or_not1_b32 s40, vcc_lo, exec_lo
	s_branch .LBB34_45
.LBB34_62:                              ;   in Loop: Header=BB34_44 Depth=2
	s_or_b32 exec_lo, exec_lo, s25
	s_xor_b32 s25, s26, -1
	s_delay_alu instid0(SALU_CYCLE_1) | instskip(NEXT) | instid1(SALU_CYCLE_1)
	s_and_saveexec_b32 s26, s25
	s_xor_b32 s25, exec_lo, s26
	s_cbranch_execz .LBB34_43
; %bb.63:                               ;   in Loop: Header=BB34_44 Depth=2
	v_lshl_add_u32 v18, v20, 2, v16
	ds_load_b32 v24, v18
	v_lshl_add_u64 v[18:19], v[8:9], 3, s[8:9]
	global_load_b64 v[20:21], v[18:19], off
	s_wait_dscnt 0x0
	global_load_b64 v[22:23], v24, s[8:9] scale_offset
	s_wait_loadcnt 0x0
	s_wait_xcnt 0x1
	v_pk_fma_f32 v[18:19], v[10:11], v[20:21], v[22:23] op_sel_hi:[1,0,1] neg_lo:[1,0,0] neg_hi:[1,0,0]
	s_delay_alu instid0(VALU_DEP_1)
	v_pk_fma_f32 v[18:19], v[12:13], v[20:21], v[18:19] op_sel:[0,1,0]
	global_store_b64 v24, v[18:19], s[8:9] scale_offset
	s_branch .LBB34_43
.LBB34_64:
	s_or_b32 exec_lo, exec_lo, s14
	s_delay_alu instid0(SALU_CYCLE_1)
	s_mov_b32 s4, exec_lo
	s_wait_storecnt 0x0
	v_cmpx_lt_i32_e32 -1, v4
	s_cbranch_execz .LBB34_86
; %bb.65:
	global_load_b64 v[6:7], v4, s[8:9] scale_offset
	v_mov_b32_e32 v5, 0
                                        ; implicit-def: $vgpr10
	s_mov_b32 s2, exec_lo
	s_wait_loadcnt 0x0
	v_cmp_gt_f32_e32 vcc_lo, 0, v6
	v_cndmask_b32_e64 v8, v6, -v6, vcc_lo
	v_cmp_gt_f32_e32 vcc_lo, 0, v7
	v_cndmask_b32_e64 v9, v7, -v7, vcc_lo
	s_delay_alu instid0(VALU_DEP_1)
	v_cmpx_ngt_f32_e32 v8, v9
	s_xor_b32 s5, exec_lo, s2
	s_cbranch_execz .LBB34_69
; %bb.66:
	v_mov_b32_e32 v10, 0
	s_mov_b32 s6, exec_lo
	v_cmpx_neq_f32_e32 0, v7
	s_cbranch_execz .LBB34_68
; %bb.67:
	v_div_scale_f32 v10, null, v9, v9, v8
	v_div_scale_f32 v13, vcc_lo, v8, v9, v8
	s_delay_alu instid0(VALU_DEP_2) | instskip(SKIP_1) | instid1(TRANS32_DEP_1)
	v_rcp_f32_e32 v11, v10
	v_nop
	v_fma_f32 v12, -v10, v11, 1.0
	s_delay_alu instid0(VALU_DEP_1) | instskip(NEXT) | instid1(VALU_DEP_1)
	v_fmac_f32_e32 v11, v12, v11
	v_mul_f32_e32 v12, v13, v11
	s_delay_alu instid0(VALU_DEP_1) | instskip(NEXT) | instid1(VALU_DEP_1)
	v_fma_f32 v16, -v10, v12, v13
	v_fmac_f32_e32 v12, v16, v11
	s_delay_alu instid0(VALU_DEP_1) | instskip(NEXT) | instid1(VALU_DEP_1)
	v_fma_f32 v10, -v10, v12, v13
	v_div_fmas_f32 v10, v10, v11, v12
	s_delay_alu instid0(VALU_DEP_1) | instskip(NEXT) | instid1(VALU_DEP_1)
	v_div_fixup_f32 v8, v10, v9, v8
	v_fma_f32 v8, v8, v8, 1.0
	s_delay_alu instid0(VALU_DEP_1) | instskip(SKIP_1) | instid1(VALU_DEP_2)
	v_mul_f32_e32 v10, 0x4f800000, v8
	v_cmp_gt_f32_e32 vcc_lo, 0xf800000, v8
	v_cndmask_b32_e32 v8, v8, v10, vcc_lo
	s_delay_alu instid0(VALU_DEP_1) | instskip(SKIP_1) | instid1(TRANS32_DEP_1)
	v_sqrt_f32_e32 v10, v8
	v_nop
	v_dual_add_nc_u32 v11, -1, v10 :: v_dual_add_nc_u32 v12, 1, v10
	s_delay_alu instid0(VALU_DEP_1) | instskip(NEXT) | instid1(VALU_DEP_1)
	v_fma_f32 v13, -v11, v10, v8
	v_cmp_ge_f32_e64 s2, 0, v13
	s_delay_alu instid0(VALU_DEP_1) | instskip(NEXT) | instid1(VALU_DEP_1)
	v_dual_fma_f32 v16, -v12, v10, v8 :: v_dual_cndmask_b32 v10, v10, v11, s2
	v_cmp_lt_f32_e64 s2, 0, v16
	s_delay_alu instid0(VALU_DEP_1) | instskip(NEXT) | instid1(VALU_DEP_1)
	v_cndmask_b32_e64 v10, v10, v12, s2
	v_mul_f32_e32 v11, 0x37800000, v10
	s_delay_alu instid0(VALU_DEP_1) | instskip(SKIP_1) | instid1(VALU_DEP_2)
	v_cndmask_b32_e32 v10, v10, v11, vcc_lo
	v_cmp_class_f32_e64 vcc_lo, v8, 0x260
	v_cndmask_b32_e32 v8, v10, v8, vcc_lo
	s_delay_alu instid0(VALU_DEP_1)
	v_mul_f32_e32 v10, v9, v8
.LBB34_68:
	s_or_b32 exec_lo, exec_lo, s6
                                        ; implicit-def: $vgpr8
                                        ; implicit-def: $vgpr9
.LBB34_69:
	s_and_not1_saveexec_b32 s5, s5
	s_cbranch_execz .LBB34_71
; %bb.70:
	v_div_scale_f32 v10, null, v8, v8, v9
	v_div_scale_f32 v13, vcc_lo, v9, v8, v9
	s_delay_alu instid0(VALU_DEP_2) | instskip(SKIP_1) | instid1(TRANS32_DEP_1)
	v_rcp_f32_e32 v11, v10
	v_nop
	v_fma_f32 v12, -v10, v11, 1.0
	s_delay_alu instid0(VALU_DEP_1) | instskip(NEXT) | instid1(VALU_DEP_1)
	v_fmac_f32_e32 v11, v12, v11
	v_mul_f32_e32 v12, v13, v11
	s_delay_alu instid0(VALU_DEP_1) | instskip(NEXT) | instid1(VALU_DEP_1)
	v_fma_f32 v16, -v10, v12, v13
	v_fmac_f32_e32 v12, v16, v11
	s_delay_alu instid0(VALU_DEP_1) | instskip(NEXT) | instid1(VALU_DEP_1)
	v_fma_f32 v10, -v10, v12, v13
	v_div_fmas_f32 v10, v10, v11, v12
	s_delay_alu instid0(VALU_DEP_1) | instskip(NEXT) | instid1(VALU_DEP_1)
	v_div_fixup_f32 v9, v10, v8, v9
	v_fma_f32 v9, v9, v9, 1.0
	s_delay_alu instid0(VALU_DEP_1) | instskip(SKIP_1) | instid1(VALU_DEP_2)
	v_mul_f32_e32 v10, 0x4f800000, v9
	v_cmp_gt_f32_e32 vcc_lo, 0xf800000, v9
	v_cndmask_b32_e32 v9, v9, v10, vcc_lo
	s_delay_alu instid0(VALU_DEP_1) | instskip(SKIP_1) | instid1(TRANS32_DEP_1)
	v_sqrt_f32_e32 v10, v9
	v_nop
	v_dual_add_nc_u32 v11, -1, v10 :: v_dual_add_nc_u32 v12, 1, v10
	s_delay_alu instid0(VALU_DEP_1) | instskip(NEXT) | instid1(VALU_DEP_1)
	v_fma_f32 v13, -v11, v10, v9
	v_cmp_ge_f32_e64 s2, 0, v13
	s_delay_alu instid0(VALU_DEP_1) | instskip(NEXT) | instid1(VALU_DEP_1)
	v_dual_fma_f32 v16, -v12, v10, v9 :: v_dual_cndmask_b32 v10, v10, v11, s2
	v_cmp_lt_f32_e64 s2, 0, v16
	s_delay_alu instid0(VALU_DEP_1) | instskip(NEXT) | instid1(VALU_DEP_1)
	v_cndmask_b32_e64 v10, v10, v12, s2
	v_mul_f32_e32 v11, 0x37800000, v10
	s_delay_alu instid0(VALU_DEP_1) | instskip(SKIP_1) | instid1(VALU_DEP_2)
	v_cndmask_b32_e32 v10, v10, v11, vcc_lo
	v_cmp_class_f32_e64 vcc_lo, v9, 0x260
	v_cndmask_b32_e32 v9, v10, v9, vcc_lo
	s_delay_alu instid0(VALU_DEP_1)
	v_mul_f32_e32 v10, v8, v9
.LBB34_71:
	s_or_b32 exec_lo, exec_lo, s5
	s_delay_alu instid0(VALU_DEP_1)
	v_cvt_f64_f32_e32 v[8:9], v10
	v_cmp_ne_u32_e32 vcc_lo, 1, v15
	v_cmp_eq_u32_e64 s2, 0, v14
	s_mov_b32 s5, -1
	s_cbranch_vccnz .LBB34_75
; %bb.72:
	v_cvt_f64_f32_e32 v[10:11], s29
	s_cmp_eq_u64 s[20:21], 8
	s_cselect_b32 vcc_lo, -1, 0
	s_delay_alu instid0(VALU_DEP_1) | instskip(NEXT) | instid1(VALU_DEP_1)
	v_dual_cndmask_b32 v3, v11, v3 :: v_dual_cndmask_b32 v2, v10, v2
	v_cmp_ge_f64_e32 vcc_lo, v[2:3], v[8:9]
	s_and_b32 s6, s2, vcc_lo
	s_delay_alu instid0(SALU_CYCLE_1)
	s_and_saveexec_b32 s5, s6
	s_cbranch_execz .LBB34_74
; %bb.73:
	v_lshl_add_u64 v[2:3], v[4:5], 3, s[8:9]
	v_dual_mov_b32 v4, s3 :: v_dual_mov_b32 v5, s22
	global_store_b64 v[2:3], v[4:5], off
	global_wb scope:SCOPE_DEV
	s_wait_storecnt 0x0
	global_inv scope:SCOPE_DEV
.LBB34_74:
	s_wait_xcnt 0x0
	s_or_b32 exec_lo, exec_lo, s5
	s_mov_b32 s5, 0
.LBB34_75:
	s_delay_alu instid0(SALU_CYCLE_1)
	s_and_not1_b32 vcc_lo, exec_lo, s5
	s_cbranch_vccnz .LBB34_86
; %bb.76:
	s_load_b64 s[0:1], s[0:1], 0x48
	v_add_nc_u32_e32 v2, s28, v0
	s_wait_kmcnt 0x0
	v_cmp_ge_f64_e32 vcc_lo, s[0:1], v[8:9]
	s_and_b32 s1, s2, vcc_lo
	s_delay_alu instid0(SALU_CYCLE_1)
	s_and_saveexec_b32 s0, s1
	s_cbranch_execz .LBB34_81
; %bb.77:
	s_mov_b32 s3, exec_lo
	s_brev_b32 s1, -2
.LBB34_78:                              ; =>This Inner Loop Header: Depth=1
	s_ctz_i32_b32 s5, s3
	s_delay_alu instid0(SALU_CYCLE_1) | instskip(SKIP_1) | instid1(SALU_CYCLE_1)
	v_readlane_b32 s6, v2, s5
	s_lshl_b32 s5, 1, s5
	s_and_not1_b32 s3, s3, s5
	s_min_i32 s1, s1, s6
	s_cmp_lg_u32 s3, 0
	s_cbranch_scc1 .LBB34_78
; %bb.79:
	v_mbcnt_lo_u32_b32 v3, exec_lo, 0
	s_mov_b32 s3, exec_lo
	s_delay_alu instid0(VALU_DEP_1)
	v_cmpx_eq_u32_e32 0, v3
	s_xor_b32 s3, exec_lo, s3
	s_cbranch_execz .LBB34_81
; %bb.80:
	v_dual_mov_b32 v3, 0 :: v_dual_mov_b32 v4, s1
	global_atomic_min_i32 v3, v4, s[18:19] scope:SCOPE_DEV
.LBB34_81:
	s_wait_xcnt 0x0
	s_or_b32 exec_lo, exec_lo, s0
	v_cmp_eq_f32_e32 vcc_lo, 0, v6
	v_cmp_eq_f32_e64 s0, 0, v7
	s_and_b32 s0, vcc_lo, s0
	s_delay_alu instid0(SALU_CYCLE_1) | instskip(NEXT) | instid1(SALU_CYCLE_1)
	s_and_b32 s0, s2, s0
	s_and_b32 exec_lo, exec_lo, s0
	s_cbranch_execz .LBB34_86
; %bb.82:
	s_mov_b32 s1, exec_lo
	s_brev_b32 s0, -2
.LBB34_83:                              ; =>This Inner Loop Header: Depth=1
	s_ctz_i32_b32 s2, s1
	s_delay_alu instid0(SALU_CYCLE_1) | instskip(SKIP_1) | instid1(SALU_CYCLE_1)
	v_readlane_b32 s3, v2, s2
	s_lshl_b32 s2, 1, s2
	s_and_not1_b32 s1, s1, s2
	s_min_i32 s0, s0, s3
	s_cmp_lg_u32 s1, 0
	s_cbranch_scc1 .LBB34_83
; %bb.84:
	v_mbcnt_lo_u32_b32 v2, exec_lo, 0
	s_mov_b32 s1, exec_lo
	s_delay_alu instid0(VALU_DEP_1)
	v_cmpx_eq_u32_e32 0, v2
	s_xor_b32 s1, exec_lo, s1
	s_cbranch_execz .LBB34_86
; %bb.85:
	v_dual_mov_b32 v2, 0 :: v_dual_mov_b32 v3, s0
	global_atomic_min_i32 v2, v3, s[16:17] scope:SCOPE_DEV
.LBB34_86:
	s_wait_xcnt 0x0
	s_or_b32 exec_lo, exec_lo, s4
	v_cmp_eq_u32_e32 vcc_lo, 0, v14
	global_wb scope:SCOPE_DEV
	s_wait_loadcnt 0x0
	s_wait_storecnt 0x0
	global_inv scope:SCOPE_DEV
	s_and_b32 exec_lo, exec_lo, vcc_lo
	s_cbranch_execz .LBB34_88
; %bb.87:
	v_lshl_add_u64 v[0:1], v[0:1], 2, s[12:13]
	v_mov_b32_e32 v2, 1
	global_wb scope:SCOPE_DEV
	s_wait_loadcnt 0x0
	s_wait_storecnt 0x0
	global_store_b32 v[0:1], v2, off scope:SCOPE_DEV
.LBB34_88:
	s_endpgm
	.section	.rodata,"a",@progbits
	.p2align	6, 0x0
	.amdhsa_kernel _ZN9rocsparseL12csrilu0_hashILj256ELj64ELj2E21rocsparse_complex_numIfEEEviPKiS4_PT2_S4_PiS4_S7_S7_d21rocsparse_index_base_imNS_24const_host_device_scalarIfEENS9_IdEENS9_IS5_EEb
		.amdhsa_group_segment_fixed_size 4096
		.amdhsa_private_segment_fixed_size 0
		.amdhsa_kernarg_size 124
		.amdhsa_user_sgpr_count 2
		.amdhsa_user_sgpr_dispatch_ptr 0
		.amdhsa_user_sgpr_queue_ptr 0
		.amdhsa_user_sgpr_kernarg_segment_ptr 1
		.amdhsa_user_sgpr_dispatch_id 0
		.amdhsa_user_sgpr_kernarg_preload_length 0
		.amdhsa_user_sgpr_kernarg_preload_offset 0
		.amdhsa_user_sgpr_private_segment_size 0
		.amdhsa_wavefront_size32 1
		.amdhsa_uses_dynamic_stack 0
		.amdhsa_enable_private_segment 0
		.amdhsa_system_sgpr_workgroup_id_x 1
		.amdhsa_system_sgpr_workgroup_id_y 0
		.amdhsa_system_sgpr_workgroup_id_z 0
		.amdhsa_system_sgpr_workgroup_info 0
		.amdhsa_system_vgpr_workitem_id 0
		.amdhsa_next_free_vgpr 25
		.amdhsa_next_free_sgpr 42
		.amdhsa_named_barrier_count 0
		.amdhsa_reserve_vcc 1
		.amdhsa_float_round_mode_32 0
		.amdhsa_float_round_mode_16_64 0
		.amdhsa_float_denorm_mode_32 3
		.amdhsa_float_denorm_mode_16_64 3
		.amdhsa_fp16_overflow 0
		.amdhsa_memory_ordered 1
		.amdhsa_forward_progress 1
		.amdhsa_inst_pref_size 28
		.amdhsa_round_robin_scheduling 0
		.amdhsa_exception_fp_ieee_invalid_op 0
		.amdhsa_exception_fp_denorm_src 0
		.amdhsa_exception_fp_ieee_div_zero 0
		.amdhsa_exception_fp_ieee_overflow 0
		.amdhsa_exception_fp_ieee_underflow 0
		.amdhsa_exception_fp_ieee_inexact 0
		.amdhsa_exception_int_div_zero 0
	.end_amdhsa_kernel
	.section	.text._ZN9rocsparseL12csrilu0_hashILj256ELj64ELj2E21rocsparse_complex_numIfEEEviPKiS4_PT2_S4_PiS4_S7_S7_d21rocsparse_index_base_imNS_24const_host_device_scalarIfEENS9_IdEENS9_IS5_EEb,"axG",@progbits,_ZN9rocsparseL12csrilu0_hashILj256ELj64ELj2E21rocsparse_complex_numIfEEEviPKiS4_PT2_S4_PiS4_S7_S7_d21rocsparse_index_base_imNS_24const_host_device_scalarIfEENS9_IdEENS9_IS5_EEb,comdat
.Lfunc_end34:
	.size	_ZN9rocsparseL12csrilu0_hashILj256ELj64ELj2E21rocsparse_complex_numIfEEEviPKiS4_PT2_S4_PiS4_S7_S7_d21rocsparse_index_base_imNS_24const_host_device_scalarIfEENS9_IdEENS9_IS5_EEb, .Lfunc_end34-_ZN9rocsparseL12csrilu0_hashILj256ELj64ELj2E21rocsparse_complex_numIfEEEviPKiS4_PT2_S4_PiS4_S7_S7_d21rocsparse_index_base_imNS_24const_host_device_scalarIfEENS9_IdEENS9_IS5_EEb
                                        ; -- End function
	.set _ZN9rocsparseL12csrilu0_hashILj256ELj64ELj2E21rocsparse_complex_numIfEEEviPKiS4_PT2_S4_PiS4_S7_S7_d21rocsparse_index_base_imNS_24const_host_device_scalarIfEENS9_IdEENS9_IS5_EEb.num_vgpr, 25
	.set _ZN9rocsparseL12csrilu0_hashILj256ELj64ELj2E21rocsparse_complex_numIfEEEviPKiS4_PT2_S4_PiS4_S7_S7_d21rocsparse_index_base_imNS_24const_host_device_scalarIfEENS9_IdEENS9_IS5_EEb.num_agpr, 0
	.set _ZN9rocsparseL12csrilu0_hashILj256ELj64ELj2E21rocsparse_complex_numIfEEEviPKiS4_PT2_S4_PiS4_S7_S7_d21rocsparse_index_base_imNS_24const_host_device_scalarIfEENS9_IdEENS9_IS5_EEb.numbered_sgpr, 42
	.set _ZN9rocsparseL12csrilu0_hashILj256ELj64ELj2E21rocsparse_complex_numIfEEEviPKiS4_PT2_S4_PiS4_S7_S7_d21rocsparse_index_base_imNS_24const_host_device_scalarIfEENS9_IdEENS9_IS5_EEb.num_named_barrier, 0
	.set _ZN9rocsparseL12csrilu0_hashILj256ELj64ELj2E21rocsparse_complex_numIfEEEviPKiS4_PT2_S4_PiS4_S7_S7_d21rocsparse_index_base_imNS_24const_host_device_scalarIfEENS9_IdEENS9_IS5_EEb.private_seg_size, 0
	.set _ZN9rocsparseL12csrilu0_hashILj256ELj64ELj2E21rocsparse_complex_numIfEEEviPKiS4_PT2_S4_PiS4_S7_S7_d21rocsparse_index_base_imNS_24const_host_device_scalarIfEENS9_IdEENS9_IS5_EEb.uses_vcc, 1
	.set _ZN9rocsparseL12csrilu0_hashILj256ELj64ELj2E21rocsparse_complex_numIfEEEviPKiS4_PT2_S4_PiS4_S7_S7_d21rocsparse_index_base_imNS_24const_host_device_scalarIfEENS9_IdEENS9_IS5_EEb.uses_flat_scratch, 0
	.set _ZN9rocsparseL12csrilu0_hashILj256ELj64ELj2E21rocsparse_complex_numIfEEEviPKiS4_PT2_S4_PiS4_S7_S7_d21rocsparse_index_base_imNS_24const_host_device_scalarIfEENS9_IdEENS9_IS5_EEb.has_dyn_sized_stack, 0
	.set _ZN9rocsparseL12csrilu0_hashILj256ELj64ELj2E21rocsparse_complex_numIfEEEviPKiS4_PT2_S4_PiS4_S7_S7_d21rocsparse_index_base_imNS_24const_host_device_scalarIfEENS9_IdEENS9_IS5_EEb.has_recursion, 0
	.set _ZN9rocsparseL12csrilu0_hashILj256ELj64ELj2E21rocsparse_complex_numIfEEEviPKiS4_PT2_S4_PiS4_S7_S7_d21rocsparse_index_base_imNS_24const_host_device_scalarIfEENS9_IdEENS9_IS5_EEb.has_indirect_call, 0
	.section	.AMDGPU.csdata,"",@progbits
; Kernel info:
; codeLenInByte = 3516
; TotalNumSgprs: 44
; NumVgprs: 25
; ScratchSize: 0
; MemoryBound: 0
; FloatMode: 240
; IeeeMode: 1
; LDSByteSize: 4096 bytes/workgroup (compile time only)
; SGPRBlocks: 0
; VGPRBlocks: 1
; NumSGPRsForWavesPerEU: 44
; NumVGPRsForWavesPerEU: 25
; NamedBarCnt: 0
; Occupancy: 16
; WaveLimiterHint : 1
; COMPUTE_PGM_RSRC2:SCRATCH_EN: 0
; COMPUTE_PGM_RSRC2:USER_SGPR: 2
; COMPUTE_PGM_RSRC2:TRAP_HANDLER: 0
; COMPUTE_PGM_RSRC2:TGID_X_EN: 1
; COMPUTE_PGM_RSRC2:TGID_Y_EN: 0
; COMPUTE_PGM_RSRC2:TGID_Z_EN: 0
; COMPUTE_PGM_RSRC2:TIDIG_COMP_CNT: 0
	.section	.text._ZN9rocsparseL12csrilu0_hashILj256ELj64ELj4E21rocsparse_complex_numIfEEEviPKiS4_PT2_S4_PiS4_S7_S7_d21rocsparse_index_base_imNS_24const_host_device_scalarIfEENS9_IdEENS9_IS5_EEb,"axG",@progbits,_ZN9rocsparseL12csrilu0_hashILj256ELj64ELj4E21rocsparse_complex_numIfEEEviPKiS4_PT2_S4_PiS4_S7_S7_d21rocsparse_index_base_imNS_24const_host_device_scalarIfEENS9_IdEENS9_IS5_EEb,comdat
	.globl	_ZN9rocsparseL12csrilu0_hashILj256ELj64ELj4E21rocsparse_complex_numIfEEEviPKiS4_PT2_S4_PiS4_S7_S7_d21rocsparse_index_base_imNS_24const_host_device_scalarIfEENS9_IdEENS9_IS5_EEb ; -- Begin function _ZN9rocsparseL12csrilu0_hashILj256ELj64ELj4E21rocsparse_complex_numIfEEEviPKiS4_PT2_S4_PiS4_S7_S7_d21rocsparse_index_base_imNS_24const_host_device_scalarIfEENS9_IdEENS9_IS5_EEb
	.p2align	8
	.type	_ZN9rocsparseL12csrilu0_hashILj256ELj64ELj4E21rocsparse_complex_numIfEEEviPKiS4_PT2_S4_PiS4_S7_S7_d21rocsparse_index_base_imNS_24const_host_device_scalarIfEENS9_IdEENS9_IS5_EEb,@function
_ZN9rocsparseL12csrilu0_hashILj256ELj64ELj4E21rocsparse_complex_numIfEEEviPKiS4_PT2_S4_PiS4_S7_S7_d21rocsparse_index_base_imNS_24const_host_device_scalarIfEENS9_IdEENS9_IS5_EEb: ; @_ZN9rocsparseL12csrilu0_hashILj256ELj64ELj4E21rocsparse_complex_numIfEEEviPKiS4_PT2_S4_PiS4_S7_S7_d21rocsparse_index_base_imNS_24const_host_device_scalarIfEENS9_IdEENS9_IS5_EEb
; %bb.0:
	s_clause 0x2
	s_load_b32 s2, s[0:1], 0x78
	s_load_b64 s[28:29], s[0:1], 0x50
	s_load_b256 s[20:27], s[0:1], 0x58
	s_wait_kmcnt 0x0
	s_bitcmp1_b32 s2, 0
	s_cselect_b32 s4, -1, 0
	s_cmp_eq_u32 s29, 0
	s_cselect_b32 s2, -1, 0
	s_cmp_lg_u32 s29, 0
	s_cselect_b32 s5, -1, 0
	s_or_b32 s7, s2, s4
	s_delay_alu instid0(SALU_CYCLE_1)
	s_xor_b32 s6, s7, -1
	s_and_b32 s2, s2, exec_lo
	s_cselect_b32 s3, 0, s25
	s_cselect_b32 s2, 0, s24
	;; [unrolled: 1-line block ×3, first 2 shown]
	s_and_b32 vcc_lo, exec_lo, s7
	s_cbranch_vccnz .LBB35_2
; %bb.1:
	s_load_b32 s29, s[22:23], 0x0
	s_mov_b64 s[2:3], s[24:25]
.LBB35_2:
	s_delay_alu instid0(SALU_CYCLE_1)
	v_mov_b64_e32 v[2:3], s[2:3]
	s_and_not1_b32 vcc_lo, exec_lo, s6
	s_cbranch_vccnz .LBB35_4
; %bb.3:
	v_mov_b32_e32 v1, 0
	flat_load_b64 v[2:3], v1, s[24:25]
.LBB35_4:
	v_cndmask_b32_e64 v15, 0, 1, s5
	s_mov_b32 s3, 0
	s_and_not1_b32 vcc_lo, exec_lo, s5
	s_wait_xcnt 0x0
	s_mov_b32 s22, 0
	s_cbranch_vccnz .LBB35_10
; %bb.5:
	s_xor_b32 s2, s4, -1
	s_mov_b32 s3, s26
	v_cndmask_b32_e64 v1, 0, 1, s2
	s_and_not1_b32 vcc_lo, exec_lo, s2
	s_cbranch_vccnz .LBB35_7
; %bb.6:
	s_load_b32 s3, s[26:27], 0x0
.LBB35_7:
	s_delay_alu instid0(VALU_DEP_1)
	v_cmp_ne_u32_e32 vcc_lo, 1, v1
	s_cbranch_vccnz .LBB35_9
; %bb.8:
	s_wait_xcnt 0x0
	s_load_b32 s27, s[26:27], 0x4
.LBB35_9:
	s_wait_kmcnt 0x0
	s_mov_b32 s22, s27
.LBB35_10:
	s_load_b32 s2, s[0:1], 0x0
	s_bfe_u32 s4, ttmp6, 0x4000c
	v_dual_lshlrev_b32 v1, 2, v0 :: v_dual_bitop2_b32 v14, 63, v0 bitop3:0x40
	s_add_co_i32 s4, s4, 1
	s_and_b32 s5, ttmp6, 15
	s_mul_i32 s4, ttmp9, s4
	s_getreg_b32 s6, hwreg(HW_REG_IB_STS2, 6, 4)
	s_add_co_i32 s5, s5, s4
	s_cmp_eq_u32 s6, 0
	v_and_b32_e32 v9, 0x300, v1
	v_dual_lshrrev_b32 v0, 6, v0 :: v_dual_mov_b32 v4, -1
	s_cselect_b32 s4, ttmp9, s5
	s_delay_alu instid0(SALU_CYCLE_1) | instskip(NEXT) | instid1(VALU_DEP_2)
	s_lshl_b32 s4, s4, 2
	v_lshl_or_b32 v5, v9, 2, 0x1000
	s_delay_alu instid0(VALU_DEP_2) | instskip(NEXT) | instid1(VALU_DEP_2)
	v_and_or_b32 v0, 0x3fffffc, s4, v0
	v_lshl_or_b32 v1, v14, 2, v5
	s_wait_kmcnt 0x0
	s_delay_alu instid0(VALU_DEP_2)
	v_cmp_gt_i32_e32 vcc_lo, s2, v0
	ds_store_2addr_stride64_b32 v1, v4, v4 offset1:1
	ds_store_2addr_stride64_b32 v1, v4, v4 offset0:2 offset1:3
	s_wait_loadcnt_dscnt 0x0
	s_and_saveexec_b32 s2, vcc_lo
	s_cbranch_execz .LBB35_88
; %bb.11:
	s_load_b512 s[4:19], s[0:1], 0x8
	v_lshlrev_b32_e32 v16, 2, v9
	s_mov_b32 s2, exec_lo
	s_wait_kmcnt 0x0
	global_load_b32 v0, v0, s[14:15] scale_offset
	s_wait_loadcnt 0x0
	v_ashrrev_i32_e32 v1, 31, v0
	s_delay_alu instid0(VALU_DEP_1)
	v_lshl_add_u64 v[6:7], v[0:1], 2, s[4:5]
	global_load_b64 v[10:11], v[6:7], off
	global_load_b32 v4, v0, s[10:11] scale_offset
	s_wait_loadcnt 0x1
	s_wait_xcnt 0x1
	v_subrev_nc_u32_e32 v6, s28, v10
	v_subrev_nc_u32_e32 v7, s28, v11
	s_delay_alu instid0(VALU_DEP_2) | instskip(SKIP_1) | instid1(VALU_DEP_1)
	v_add_nc_u32_e32 v8, v6, v14
	s_wait_xcnt 0x0
	v_cmpx_lt_i32_e64 v8, v7
	s_cbranch_execz .LBB35_34
; %bb.12:
	v_mov_b32_e32 v9, -1
	s_mov_b32 s14, 0
	s_branch .LBB35_14
.LBB35_13:                              ;   in Loop: Header=BB35_14 Depth=1
	s_or_b32 exec_lo, exec_lo, s15
	v_add_nc_u32_e32 v8, 64, v8
	s_delay_alu instid0(VALU_DEP_1) | instskip(SKIP_1) | instid1(SALU_CYCLE_1)
	v_cmp_ge_i32_e32 vcc_lo, v8, v7
	s_or_b32 s14, vcc_lo, s14
	s_and_not1_b32 exec_lo, exec_lo, s14
	s_cbranch_execz .LBB35_34
.LBB35_14:                              ; =>This Loop Header: Depth=1
                                        ;     Child Loop BB35_23 Depth 2
	global_load_b32 v10, v8, s[6:7] scale_offset
	v_mov_b32_e32 v11, 0x100
	s_mov_b32 s15, 0
                                        ; implicit-def: $sgpr23
                                        ; implicit-def: $sgpr24
                                        ; implicit-def: $sgpr25
	s_wait_loadcnt 0x0
	v_mul_lo_u32 v13, 0x67, v10
	s_branch .LBB35_23
.LBB35_15:                              ;   in Loop: Header=BB35_23 Depth=2
	s_or_b32 exec_lo, exec_lo, s38
	s_delay_alu instid0(SALU_CYCLE_1)
	s_or_not1_b32 s36, s36, exec_lo
	s_or_not1_b32 s37, s37, exec_lo
.LBB35_16:                              ;   in Loop: Header=BB35_23 Depth=2
	s_or_b32 exec_lo, exec_lo, s35
	s_delay_alu instid0(SALU_CYCLE_1)
	s_and_b32 s36, s36, exec_lo
	s_or_not1_b32 s35, s37, exec_lo
.LBB35_17:                              ;   in Loop: Header=BB35_23 Depth=2
	s_or_b32 exec_lo, exec_lo, s34
	s_delay_alu instid0(SALU_CYCLE_1)
	s_or_not1_b32 s34, s36, exec_lo
	s_or_not1_b32 s35, s35, exec_lo
.LBB35_18:                              ;   in Loop: Header=BB35_23 Depth=2
	s_or_b32 exec_lo, exec_lo, s33
	s_delay_alu instid0(SALU_CYCLE_1)
	s_and_b32 s34, s34, exec_lo
	s_or_not1_b32 s33, s35, exec_lo
.LBB35_19:                              ;   in Loop: Header=BB35_23 Depth=2
	s_or_b32 exec_lo, exec_lo, s31
	s_delay_alu instid0(SALU_CYCLE_1)
	s_or_not1_b32 s31, s34, exec_lo
	s_or_not1_b32 s33, s33, exec_lo
.LBB35_20:                              ;   in Loop: Header=BB35_23 Depth=2
	s_or_b32 exec_lo, exec_lo, s30
	s_delay_alu instid0(SALU_CYCLE_1)
	s_and_b32 s31, s31, exec_lo
	s_or_not1_b32 s30, s33, exec_lo
.LBB35_21:                              ;   in Loop: Header=BB35_23 Depth=2
	s_or_b32 exec_lo, exec_lo, s27
	s_delay_alu instid0(SALU_CYCLE_1)
	s_and_not1_b32 s25, s25, exec_lo
	s_and_b32 s27, s31, exec_lo
	s_and_not1_b32 s24, s24, exec_lo
	s_and_b32 s30, s30, exec_lo
	s_or_b32 s25, s25, s27
	s_or_b32 s24, s24, s30
.LBB35_22:                              ;   in Loop: Header=BB35_23 Depth=2
	s_or_b32 exec_lo, exec_lo, s26
	s_delay_alu instid0(SALU_CYCLE_1) | instskip(NEXT) | instid1(SALU_CYCLE_1)
	s_and_b32 s26, exec_lo, s24
	s_or_b32 s15, s26, s15
	s_and_not1_b32 s23, s23, exec_lo
	s_and_b32 s26, s25, exec_lo
	s_delay_alu instid0(SALU_CYCLE_1)
	s_or_b32 s23, s23, s26
	s_and_not1_b32 exec_lo, exec_lo, s15
	s_cbranch_execz .LBB35_32
.LBB35_23:                              ;   Parent Loop BB35_14 Depth=1
                                        ; =>  This Inner Loop Header: Depth=2
	s_delay_alu instid0(VALU_DEP_1) | instskip(SKIP_3) | instid1(VALU_DEP_1)
	v_and_b32_e32 v12, 0xff, v13
	s_or_b32 s25, s25, exec_lo
	s_or_b32 s24, s24, exec_lo
	s_mov_b32 s26, exec_lo
	v_lshl_add_u32 v17, v12, 2, v5
	ds_load_b32 v18, v17
	s_wait_dscnt 0x0
	s_wait_xcnt 0x0
	v_cmpx_ne_u32_e64 v18, v10
	s_cbranch_execz .LBB35_22
; %bb.24:                               ;   in Loop: Header=BB35_23 Depth=2
	ds_cmpstore_rtn_b32 v17, v17, v10, v9
	s_mov_b32 s30, -1
	s_mov_b32 s31, 0
	s_mov_b32 s27, exec_lo
	s_wait_dscnt 0x0
	v_cmpx_ne_u32_e32 -1, v17
	s_cbranch_execz .LBB35_21
; %bb.25:                               ;   in Loop: Header=BB35_23 Depth=2
	v_add_nc_u32_e32 v12, 1, v13
	s_mov_b32 s33, -1
	s_mov_b32 s31, -1
	s_mov_b32 s30, exec_lo
	s_delay_alu instid0(VALU_DEP_1) | instskip(NEXT) | instid1(VALU_DEP_1)
	v_and_b32_e32 v12, 0xff, v12
	v_lshl_add_u32 v17, v12, 2, v5
	ds_load_b32 v18, v17
	s_wait_dscnt 0x0
	v_cmpx_ne_u32_e64 v18, v10
	s_cbranch_execz .LBB35_20
; %bb.26:                               ;   in Loop: Header=BB35_23 Depth=2
	ds_cmpstore_rtn_b32 v17, v17, v10, v9
	s_mov_b32 s34, 0
	s_mov_b32 s31, exec_lo
	s_wait_dscnt 0x0
	v_cmpx_ne_u32_e32 -1, v17
	s_cbranch_execz .LBB35_19
; %bb.27:                               ;   in Loop: Header=BB35_23 Depth=2
	v_add_nc_u32_e32 v12, 2, v13
	s_mov_b32 s35, -1
	s_mov_b32 s34, -1
	s_mov_b32 s33, exec_lo
	s_delay_alu instid0(VALU_DEP_1) | instskip(NEXT) | instid1(VALU_DEP_1)
	v_and_b32_e32 v12, 0xff, v12
	v_lshl_add_u32 v17, v12, 2, v5
	ds_load_b32 v18, v17
	s_wait_dscnt 0x0
	v_cmpx_ne_u32_e64 v18, v10
	s_cbranch_execz .LBB35_18
; %bb.28:                               ;   in Loop: Header=BB35_23 Depth=2
	ds_cmpstore_rtn_b32 v17, v17, v10, v9
	s_mov_b32 s36, 0
	s_mov_b32 s34, exec_lo
	s_wait_dscnt 0x0
	v_cmpx_ne_u32_e32 -1, v17
	s_cbranch_execz .LBB35_17
; %bb.29:                               ;   in Loop: Header=BB35_23 Depth=2
	v_add_nc_u32_e32 v12, 3, v13
	s_mov_b32 s37, -1
	s_mov_b32 s36, -1
	s_delay_alu instid0(VALU_DEP_1) | instskip(NEXT) | instid1(VALU_DEP_1)
	v_and_b32_e32 v12, 0xff, v12
	v_lshl_add_u32 v17, v12, 2, v5
	ds_load_b32 v13, v17
	s_wait_dscnt 0x0
	v_cmp_ne_u32_e32 vcc_lo, v13, v10
                                        ; implicit-def: $vgpr13
	s_and_saveexec_b32 s35, vcc_lo
	s_cbranch_execz .LBB35_16
; %bb.30:                               ;   in Loop: Header=BB35_23 Depth=2
	ds_cmpstore_rtn_b32 v13, v17, v10, v9
	s_mov_b32 s36, 0
	s_wait_dscnt 0x0
	v_cmp_ne_u32_e32 vcc_lo, -1, v13
                                        ; implicit-def: $vgpr13
	s_and_saveexec_b32 s38, vcc_lo
	s_cbranch_execz .LBB35_15
; %bb.31:                               ;   in Loop: Header=BB35_23 Depth=2
	v_dual_add_nc_u32 v11, -4, v11 :: v_dual_add_nc_u32 v13, 1, v12
	s_mov_b32 s36, exec_lo
	s_delay_alu instid0(VALU_DEP_1)
	v_cmp_eq_u32_e32 vcc_lo, 0, v11
	s_or_not1_b32 s37, vcc_lo, exec_lo
	s_branch .LBB35_15
.LBB35_32:                              ;   in Loop: Header=BB35_14 Depth=1
	s_or_b32 exec_lo, exec_lo, s15
	s_xor_b32 s15, s23, -1
	s_delay_alu instid0(SALU_CYCLE_1) | instskip(NEXT) | instid1(SALU_CYCLE_1)
	s_and_saveexec_b32 s23, s15
	s_xor_b32 s15, exec_lo, s23
	s_cbranch_execz .LBB35_13
; %bb.33:                               ;   in Loop: Header=BB35_14 Depth=1
	v_lshl_add_u32 v10, v12, 2, v16
	ds_store_b32 v10, v8
	s_branch .LBB35_13
.LBB35_34:
	s_or_b32 exec_lo, exec_lo, s2
	s_delay_alu instid0(SALU_CYCLE_1)
	s_mov_b32 s14, exec_lo
	s_wait_loadcnt_dscnt 0x0
	v_cmpx_lt_i32_e64 v6, v4
	s_cbranch_execz .LBB35_64
; %bb.35:
	v_add_nc_u32_e32 v17, 1, v14
	s_mov_b32 s15, 0
	s_branch .LBB35_38
.LBB35_36:                              ;   in Loop: Header=BB35_38 Depth=1
	s_or_b32 exec_lo, exec_lo, s23
	v_add_nc_u32_e32 v6, 1, v6
	s_delay_alu instid0(VALU_DEP_1)
	v_cmp_ge_i32_e32 vcc_lo, v6, v4
	s_or_not1_b32 s23, vcc_lo, exec_lo
.LBB35_37:                              ;   in Loop: Header=BB35_38 Depth=1
	s_or_b32 exec_lo, exec_lo, s2
	s_delay_alu instid0(SALU_CYCLE_1) | instskip(NEXT) | instid1(SALU_CYCLE_1)
	s_and_b32 s2, exec_lo, s23
	s_or_b32 s15, s2, s15
	s_delay_alu instid0(SALU_CYCLE_1)
	s_and_not1_b32 exec_lo, exec_lo, s15
	s_cbranch_execz .LBB35_64
.LBB35_38:                              ; =>This Loop Header: Depth=1
                                        ;     Child Loop BB35_39 Depth 2
                                        ;     Child Loop BB35_44 Depth 2
                                        ;       Child Loop BB35_53 Depth 3
	s_clause 0x1
	global_load_b32 v7, v6, s[6:7] scale_offset
	global_load_b64 v[8:9], v6, s[8:9] scale_offset
	s_mov_b32 s2, 0
	s_wait_loadcnt 0x1
	v_subrev_nc_u32_e32 v10, s28, v7
	v_ashrrev_i32_e32 v7, 31, v6
	s_clause 0x1
	global_load_b32 v19, v10, s[4:5] offset:4 scale_offset
	global_load_b32 v18, v10, s[10:11] scale_offset
	v_ashrrev_i32_e32 v11, 31, v10
	v_lshl_add_u64 v[12:13], v[6:7], 3, s[8:9]
	s_wait_xcnt 0x0
	s_delay_alu instid0(VALU_DEP_2)
	v_lshl_add_u64 v[10:11], v[10:11], 2, s[12:13]
.LBB35_39:                              ;   Parent Loop BB35_38 Depth=1
                                        ; =>  This Inner Loop Header: Depth=2
	global_load_b32 v7, v[10:11], off scope:SCOPE_DEV
	s_wait_loadcnt 0x0
	v_cmp_ne_u32_e32 vcc_lo, 0, v7
	s_or_b32 s2, vcc_lo, s2
	s_wait_xcnt 0x0
	s_and_not1_b32 exec_lo, exec_lo, s2
	s_cbranch_execnz .LBB35_39
; %bb.40:                               ;   in Loop: Header=BB35_38 Depth=1
	s_or_b32 exec_lo, exec_lo, s2
	v_subrev_nc_u32_e32 v7, s28, v19
	v_cmp_eq_u32_e32 vcc_lo, -1, v18
	global_inv scope:SCOPE_DEV
	s_mov_b32 s23, -1
	v_add_nc_u32_e32 v10, -1, v7
	s_delay_alu instid0(VALU_DEP_1)
	v_cndmask_b32_e32 v18, v18, v10, vcc_lo
	global_load_b64 v[10:11], v18, s[8:9] scale_offset
	s_wait_loadcnt 0x0
	v_cmp_neq_f32_e32 vcc_lo, 0, v10
	v_cmp_neq_f32_e64 s2, 0, v11
	s_or_b32 s24, vcc_lo, s2
	s_wait_xcnt 0x0
	s_and_saveexec_b32 s2, s24
	s_cbranch_execz .LBB35_37
; %bb.41:                               ;   in Loop: Header=BB35_38 Depth=1
	v_mul_f32_e32 v19, v11, v11
	s_mov_b32 s23, exec_lo
	s_delay_alu instid0(VALU_DEP_1) | instskip(NEXT) | instid1(VALU_DEP_1)
	v_fmac_f32_e32 v19, v10, v10
	v_div_scale_f32 v20, null, v19, v19, 1.0
	v_div_scale_f32 v23, vcc_lo, 1.0, v19, 1.0
	s_delay_alu instid0(VALU_DEP_2) | instskip(SKIP_1) | instid1(TRANS32_DEP_1)
	v_rcp_f32_e32 v21, v20
	v_nop
	v_fma_f32 v22, -v20, v21, 1.0
	s_delay_alu instid0(VALU_DEP_1) | instskip(NEXT) | instid1(VALU_DEP_1)
	v_fmac_f32_e32 v21, v22, v21
	v_mul_f32_e32 v22, v23, v21
	s_delay_alu instid0(VALU_DEP_1) | instskip(NEXT) | instid1(VALU_DEP_1)
	v_fma_f32 v24, -v20, v22, v23
	v_fmac_f32_e32 v22, v24, v21
	s_delay_alu instid0(VALU_DEP_1) | instskip(NEXT) | instid1(VALU_DEP_1)
	v_dual_fma_f32 v23, -v20, v22, v23 :: v_dual_mov_b32 v20, v11
	v_div_fmas_f32 v11, v23, v21, v22
	s_delay_alu instid0(VALU_DEP_2) | instskip(NEXT) | instid1(VALU_DEP_2)
	v_pk_mul_f32 v[20:21], v[8:9], v[20:21] op_sel:[1,0] op_sel_hi:[0,0] neg_hi:[1,0]
	v_div_fixup_f32 v22, v11, v19, 1.0
	s_delay_alu instid0(VALU_DEP_2) | instskip(SKIP_1) | instid1(VALU_DEP_2)
	v_pk_fma_f32 v[10:11], v[8:9], v[10:11], v[20:21] op_sel_hi:[1,0,1]
	v_add_nc_u32_e32 v8, v17, v18
	v_pk_mul_f32 v[10:11], v[10:11], v[22:23] op_sel_hi:[1,0]
	global_store_b64 v[12:13], v[10:11], off
	s_wait_xcnt 0x0
	v_cmpx_lt_i32_e64 v8, v7
	s_cbranch_execz .LBB35_36
; %bb.42:                               ;   in Loop: Header=BB35_38 Depth=1
	v_xor_b32_e32 v13, 0x80000000, v10
	v_mov_b32_e32 v12, v11
	s_mov_b32 s24, 0
	s_branch .LBB35_44
.LBB35_43:                              ;   in Loop: Header=BB35_44 Depth=2
	s_wait_xcnt 0x0
	s_or_b32 exec_lo, exec_lo, s25
	v_add_nc_u32_e32 v8, 64, v8
	s_delay_alu instid0(VALU_DEP_1) | instskip(SKIP_1) | instid1(SALU_CYCLE_1)
	v_cmp_ge_i32_e32 vcc_lo, v8, v7
	s_or_b32 s24, vcc_lo, s24
	s_and_not1_b32 exec_lo, exec_lo, s24
	s_cbranch_execz .LBB35_36
.LBB35_44:                              ;   Parent Loop BB35_38 Depth=1
                                        ; =>  This Loop Header: Depth=2
                                        ;       Child Loop BB35_53 Depth 3
	global_load_b32 v18, v8, s[6:7] scale_offset
	v_ashrrev_i32_e32 v9, 31, v8
	v_mov_b32_e32 v19, 0x100
	s_mov_b32 s25, 0
                                        ; implicit-def: $sgpr26
                                        ; implicit-def: $sgpr27
                                        ; implicit-def: $sgpr30
	s_wait_loadcnt 0x0
	v_mul_lo_u32 v21, 0x67, v18
	s_branch .LBB35_53
.LBB35_45:                              ;   in Loop: Header=BB35_53 Depth=3
	s_or_b32 exec_lo, exec_lo, s41
	s_delay_alu instid0(SALU_CYCLE_1)
	s_or_not1_b32 s39, s39, exec_lo
	s_or_not1_b32 s40, s40, exec_lo
.LBB35_46:                              ;   in Loop: Header=BB35_53 Depth=3
	s_or_b32 exec_lo, exec_lo, s38
	s_delay_alu instid0(SALU_CYCLE_1)
	s_and_b32 s39, s39, exec_lo
	s_or_not1_b32 s38, s40, exec_lo
.LBB35_47:                              ;   in Loop: Header=BB35_53 Depth=3
	s_or_b32 exec_lo, exec_lo, s37
	s_delay_alu instid0(SALU_CYCLE_1)
	s_or_not1_b32 s37, s39, exec_lo
	s_or_not1_b32 s38, s38, exec_lo
.LBB35_48:                              ;   in Loop: Header=BB35_53 Depth=3
	s_or_b32 exec_lo, exec_lo, s36
	s_delay_alu instid0(SALU_CYCLE_1)
	s_and_b32 s37, s37, exec_lo
	s_or_not1_b32 s36, s38, exec_lo
.LBB35_49:                              ;   in Loop: Header=BB35_53 Depth=3
	s_or_b32 exec_lo, exec_lo, s35
	s_delay_alu instid0(SALU_CYCLE_1)
	s_or_not1_b32 s35, s37, exec_lo
	s_or_not1_b32 s36, s36, exec_lo
.LBB35_50:                              ;   in Loop: Header=BB35_53 Depth=3
	s_or_b32 exec_lo, exec_lo, s34
	s_delay_alu instid0(SALU_CYCLE_1)
	s_and_b32 s35, s35, exec_lo
	s_or_not1_b32 s34, s36, exec_lo
.LBB35_51:                              ;   in Loop: Header=BB35_53 Depth=3
	s_or_b32 exec_lo, exec_lo, s33
	s_delay_alu instid0(SALU_CYCLE_1)
	s_and_not1_b32 s30, s30, exec_lo
	s_and_b32 s33, s35, exec_lo
	s_and_not1_b32 s27, s27, exec_lo
	s_and_b32 s34, s34, exec_lo
	s_or_b32 s30, s30, s33
	s_or_b32 s27, s27, s34
.LBB35_52:                              ;   in Loop: Header=BB35_53 Depth=3
	s_or_b32 exec_lo, exec_lo, s31
	s_delay_alu instid0(SALU_CYCLE_1) | instskip(NEXT) | instid1(SALU_CYCLE_1)
	s_and_b32 s31, exec_lo, s27
	s_or_b32 s25, s31, s25
	s_and_not1_b32 s26, s26, exec_lo
	s_and_b32 s31, s30, exec_lo
	s_delay_alu instid0(SALU_CYCLE_1)
	s_or_b32 s26, s26, s31
	s_and_not1_b32 exec_lo, exec_lo, s25
	s_cbranch_execz .LBB35_62
.LBB35_53:                              ;   Parent Loop BB35_38 Depth=1
                                        ;     Parent Loop BB35_44 Depth=2
                                        ; =>    This Inner Loop Header: Depth=3
	s_delay_alu instid0(VALU_DEP_1) | instskip(SKIP_3) | instid1(VALU_DEP_1)
	v_and_b32_e32 v20, 0xff, v21
	s_or_b32 s30, s30, exec_lo
	s_or_b32 s27, s27, exec_lo
	s_mov_b32 s31, exec_lo
	v_lshl_add_u32 v22, v20, 2, v5
	ds_load_b32 v22, v22
	s_wait_dscnt 0x0
	s_wait_xcnt 0x0
	v_cmpx_ne_u32_e32 -1, v22
	s_cbranch_execz .LBB35_52
; %bb.54:                               ;   in Loop: Header=BB35_53 Depth=3
	s_mov_b32 s34, -1
	s_mov_b32 s35, 0
	s_mov_b32 s33, exec_lo
	v_cmpx_ne_u32_e64 v22, v18
	s_cbranch_execz .LBB35_51
; %bb.55:                               ;   in Loop: Header=BB35_53 Depth=3
	v_add_nc_u32_e32 v20, 1, v21
	s_mov_b32 s36, -1
	s_mov_b32 s35, -1
	s_mov_b32 s34, exec_lo
	s_delay_alu instid0(VALU_DEP_1) | instskip(NEXT) | instid1(VALU_DEP_1)
	v_and_b32_e32 v20, 0xff, v20
	v_lshl_add_u32 v22, v20, 2, v5
	ds_load_b32 v22, v22
	s_wait_dscnt 0x0
	v_cmpx_ne_u32_e32 -1, v22
	s_cbranch_execz .LBB35_50
; %bb.56:                               ;   in Loop: Header=BB35_53 Depth=3
	s_mov_b32 s37, 0
	s_mov_b32 s35, exec_lo
	v_cmpx_ne_u32_e64 v22, v18
	s_cbranch_execz .LBB35_49
; %bb.57:                               ;   in Loop: Header=BB35_53 Depth=3
	v_add_nc_u32_e32 v20, 2, v21
	s_mov_b32 s38, -1
	s_mov_b32 s37, -1
	s_mov_b32 s36, exec_lo
	s_delay_alu instid0(VALU_DEP_1) | instskip(NEXT) | instid1(VALU_DEP_1)
	v_and_b32_e32 v20, 0xff, v20
	v_lshl_add_u32 v22, v20, 2, v5
	ds_load_b32 v22, v22
	s_wait_dscnt 0x0
	v_cmpx_ne_u32_e32 -1, v22
	s_cbranch_execz .LBB35_48
; %bb.58:                               ;   in Loop: Header=BB35_53 Depth=3
	s_mov_b32 s39, 0
	s_mov_b32 s37, exec_lo
	v_cmpx_ne_u32_e64 v22, v18
	s_cbranch_execz .LBB35_47
; %bb.59:                               ;   in Loop: Header=BB35_53 Depth=3
	v_add_nc_u32_e32 v20, 3, v21
	s_mov_b32 s40, -1
	s_mov_b32 s39, -1
	s_mov_b32 s38, exec_lo
	s_delay_alu instid0(VALU_DEP_1) | instskip(NEXT) | instid1(VALU_DEP_1)
	v_and_b32_e32 v20, 0xff, v20
	v_lshl_add_u32 v21, v20, 2, v5
	ds_load_b32 v22, v21
                                        ; implicit-def: $vgpr21
	s_wait_dscnt 0x0
	v_cmpx_ne_u32_e32 -1, v22
	s_cbranch_execz .LBB35_46
; %bb.60:                               ;   in Loop: Header=BB35_53 Depth=3
	s_mov_b32 s39, 0
	s_mov_b32 s41, exec_lo
                                        ; implicit-def: $vgpr21
	v_cmpx_ne_u32_e64 v22, v18
	s_cbranch_execz .LBB35_45
; %bb.61:                               ;   in Loop: Header=BB35_53 Depth=3
	v_dual_add_nc_u32 v19, -4, v19 :: v_dual_add_nc_u32 v21, 1, v20
	s_mov_b32 s39, exec_lo
	s_delay_alu instid0(VALU_DEP_1)
	v_cmp_eq_u32_e32 vcc_lo, 0, v19
	s_or_not1_b32 s40, vcc_lo, exec_lo
	s_branch .LBB35_45
.LBB35_62:                              ;   in Loop: Header=BB35_44 Depth=2
	s_or_b32 exec_lo, exec_lo, s25
	s_xor_b32 s25, s26, -1
	s_delay_alu instid0(SALU_CYCLE_1) | instskip(NEXT) | instid1(SALU_CYCLE_1)
	s_and_saveexec_b32 s26, s25
	s_xor_b32 s25, exec_lo, s26
	s_cbranch_execz .LBB35_43
; %bb.63:                               ;   in Loop: Header=BB35_44 Depth=2
	v_lshl_add_u32 v18, v20, 2, v16
	ds_load_b32 v24, v18
	v_lshl_add_u64 v[18:19], v[8:9], 3, s[8:9]
	global_load_b64 v[20:21], v[18:19], off
	s_wait_dscnt 0x0
	global_load_b64 v[22:23], v24, s[8:9] scale_offset
	s_wait_loadcnt 0x0
	s_wait_xcnt 0x1
	v_pk_fma_f32 v[18:19], v[10:11], v[20:21], v[22:23] op_sel_hi:[1,0,1] neg_lo:[1,0,0] neg_hi:[1,0,0]
	s_delay_alu instid0(VALU_DEP_1)
	v_pk_fma_f32 v[18:19], v[12:13], v[20:21], v[18:19] op_sel:[0,1,0]
	global_store_b64 v24, v[18:19], s[8:9] scale_offset
	s_branch .LBB35_43
.LBB35_64:
	s_or_b32 exec_lo, exec_lo, s14
	s_delay_alu instid0(SALU_CYCLE_1)
	s_mov_b32 s4, exec_lo
	s_wait_storecnt 0x0
	v_cmpx_lt_i32_e32 -1, v4
	s_cbranch_execz .LBB35_86
; %bb.65:
	global_load_b64 v[6:7], v4, s[8:9] scale_offset
	v_mov_b32_e32 v5, 0
                                        ; implicit-def: $vgpr10
	s_mov_b32 s2, exec_lo
	s_wait_loadcnt 0x0
	v_cmp_gt_f32_e32 vcc_lo, 0, v6
	v_cndmask_b32_e64 v8, v6, -v6, vcc_lo
	v_cmp_gt_f32_e32 vcc_lo, 0, v7
	v_cndmask_b32_e64 v9, v7, -v7, vcc_lo
	s_delay_alu instid0(VALU_DEP_1)
	v_cmpx_ngt_f32_e32 v8, v9
	s_xor_b32 s5, exec_lo, s2
	s_cbranch_execz .LBB35_69
; %bb.66:
	v_mov_b32_e32 v10, 0
	s_mov_b32 s6, exec_lo
	v_cmpx_neq_f32_e32 0, v7
	s_cbranch_execz .LBB35_68
; %bb.67:
	v_div_scale_f32 v10, null, v9, v9, v8
	v_div_scale_f32 v13, vcc_lo, v8, v9, v8
	s_delay_alu instid0(VALU_DEP_2) | instskip(SKIP_1) | instid1(TRANS32_DEP_1)
	v_rcp_f32_e32 v11, v10
	v_nop
	v_fma_f32 v12, -v10, v11, 1.0
	s_delay_alu instid0(VALU_DEP_1) | instskip(NEXT) | instid1(VALU_DEP_1)
	v_fmac_f32_e32 v11, v12, v11
	v_mul_f32_e32 v12, v13, v11
	s_delay_alu instid0(VALU_DEP_1) | instskip(NEXT) | instid1(VALU_DEP_1)
	v_fma_f32 v16, -v10, v12, v13
	v_fmac_f32_e32 v12, v16, v11
	s_delay_alu instid0(VALU_DEP_1) | instskip(NEXT) | instid1(VALU_DEP_1)
	v_fma_f32 v10, -v10, v12, v13
	v_div_fmas_f32 v10, v10, v11, v12
	s_delay_alu instid0(VALU_DEP_1) | instskip(NEXT) | instid1(VALU_DEP_1)
	v_div_fixup_f32 v8, v10, v9, v8
	v_fma_f32 v8, v8, v8, 1.0
	s_delay_alu instid0(VALU_DEP_1) | instskip(SKIP_1) | instid1(VALU_DEP_2)
	v_mul_f32_e32 v10, 0x4f800000, v8
	v_cmp_gt_f32_e32 vcc_lo, 0xf800000, v8
	v_cndmask_b32_e32 v8, v8, v10, vcc_lo
	s_delay_alu instid0(VALU_DEP_1) | instskip(SKIP_1) | instid1(TRANS32_DEP_1)
	v_sqrt_f32_e32 v10, v8
	v_nop
	v_dual_add_nc_u32 v11, -1, v10 :: v_dual_add_nc_u32 v12, 1, v10
	s_delay_alu instid0(VALU_DEP_1) | instskip(NEXT) | instid1(VALU_DEP_1)
	v_fma_f32 v13, -v11, v10, v8
	v_cmp_ge_f32_e64 s2, 0, v13
	s_delay_alu instid0(VALU_DEP_1) | instskip(NEXT) | instid1(VALU_DEP_1)
	v_dual_fma_f32 v16, -v12, v10, v8 :: v_dual_cndmask_b32 v10, v10, v11, s2
	v_cmp_lt_f32_e64 s2, 0, v16
	s_delay_alu instid0(VALU_DEP_1) | instskip(NEXT) | instid1(VALU_DEP_1)
	v_cndmask_b32_e64 v10, v10, v12, s2
	v_mul_f32_e32 v11, 0x37800000, v10
	s_delay_alu instid0(VALU_DEP_1) | instskip(SKIP_1) | instid1(VALU_DEP_2)
	v_cndmask_b32_e32 v10, v10, v11, vcc_lo
	v_cmp_class_f32_e64 vcc_lo, v8, 0x260
	v_cndmask_b32_e32 v8, v10, v8, vcc_lo
	s_delay_alu instid0(VALU_DEP_1)
	v_mul_f32_e32 v10, v9, v8
.LBB35_68:
	s_or_b32 exec_lo, exec_lo, s6
                                        ; implicit-def: $vgpr8
                                        ; implicit-def: $vgpr9
.LBB35_69:
	s_and_not1_saveexec_b32 s5, s5
	s_cbranch_execz .LBB35_71
; %bb.70:
	v_div_scale_f32 v10, null, v8, v8, v9
	v_div_scale_f32 v13, vcc_lo, v9, v8, v9
	s_delay_alu instid0(VALU_DEP_2) | instskip(SKIP_1) | instid1(TRANS32_DEP_1)
	v_rcp_f32_e32 v11, v10
	v_nop
	v_fma_f32 v12, -v10, v11, 1.0
	s_delay_alu instid0(VALU_DEP_1) | instskip(NEXT) | instid1(VALU_DEP_1)
	v_fmac_f32_e32 v11, v12, v11
	v_mul_f32_e32 v12, v13, v11
	s_delay_alu instid0(VALU_DEP_1) | instskip(NEXT) | instid1(VALU_DEP_1)
	v_fma_f32 v16, -v10, v12, v13
	v_fmac_f32_e32 v12, v16, v11
	s_delay_alu instid0(VALU_DEP_1) | instskip(NEXT) | instid1(VALU_DEP_1)
	v_fma_f32 v10, -v10, v12, v13
	v_div_fmas_f32 v10, v10, v11, v12
	s_delay_alu instid0(VALU_DEP_1) | instskip(NEXT) | instid1(VALU_DEP_1)
	v_div_fixup_f32 v9, v10, v8, v9
	v_fma_f32 v9, v9, v9, 1.0
	s_delay_alu instid0(VALU_DEP_1) | instskip(SKIP_1) | instid1(VALU_DEP_2)
	v_mul_f32_e32 v10, 0x4f800000, v9
	v_cmp_gt_f32_e32 vcc_lo, 0xf800000, v9
	v_cndmask_b32_e32 v9, v9, v10, vcc_lo
	s_delay_alu instid0(VALU_DEP_1) | instskip(SKIP_1) | instid1(TRANS32_DEP_1)
	v_sqrt_f32_e32 v10, v9
	v_nop
	v_dual_add_nc_u32 v11, -1, v10 :: v_dual_add_nc_u32 v12, 1, v10
	s_delay_alu instid0(VALU_DEP_1) | instskip(NEXT) | instid1(VALU_DEP_1)
	v_fma_f32 v13, -v11, v10, v9
	v_cmp_ge_f32_e64 s2, 0, v13
	s_delay_alu instid0(VALU_DEP_1) | instskip(NEXT) | instid1(VALU_DEP_1)
	v_dual_fma_f32 v16, -v12, v10, v9 :: v_dual_cndmask_b32 v10, v10, v11, s2
	v_cmp_lt_f32_e64 s2, 0, v16
	s_delay_alu instid0(VALU_DEP_1) | instskip(NEXT) | instid1(VALU_DEP_1)
	v_cndmask_b32_e64 v10, v10, v12, s2
	v_mul_f32_e32 v11, 0x37800000, v10
	s_delay_alu instid0(VALU_DEP_1) | instskip(SKIP_1) | instid1(VALU_DEP_2)
	v_cndmask_b32_e32 v10, v10, v11, vcc_lo
	v_cmp_class_f32_e64 vcc_lo, v9, 0x260
	v_cndmask_b32_e32 v9, v10, v9, vcc_lo
	s_delay_alu instid0(VALU_DEP_1)
	v_mul_f32_e32 v10, v8, v9
.LBB35_71:
	s_or_b32 exec_lo, exec_lo, s5
	s_delay_alu instid0(VALU_DEP_1)
	v_cvt_f64_f32_e32 v[8:9], v10
	v_cmp_ne_u32_e32 vcc_lo, 1, v15
	v_cmp_eq_u32_e64 s2, 0, v14
	s_mov_b32 s5, -1
	s_cbranch_vccnz .LBB35_75
; %bb.72:
	v_cvt_f64_f32_e32 v[10:11], s29
	s_cmp_eq_u64 s[20:21], 8
	s_cselect_b32 vcc_lo, -1, 0
	s_delay_alu instid0(VALU_DEP_1) | instskip(NEXT) | instid1(VALU_DEP_1)
	v_dual_cndmask_b32 v3, v11, v3 :: v_dual_cndmask_b32 v2, v10, v2
	v_cmp_ge_f64_e32 vcc_lo, v[2:3], v[8:9]
	s_and_b32 s6, s2, vcc_lo
	s_delay_alu instid0(SALU_CYCLE_1)
	s_and_saveexec_b32 s5, s6
	s_cbranch_execz .LBB35_74
; %bb.73:
	v_lshl_add_u64 v[2:3], v[4:5], 3, s[8:9]
	v_dual_mov_b32 v4, s3 :: v_dual_mov_b32 v5, s22
	global_store_b64 v[2:3], v[4:5], off
	global_wb scope:SCOPE_DEV
	s_wait_storecnt 0x0
	global_inv scope:SCOPE_DEV
.LBB35_74:
	s_wait_xcnt 0x0
	s_or_b32 exec_lo, exec_lo, s5
	s_mov_b32 s5, 0
.LBB35_75:
	s_delay_alu instid0(SALU_CYCLE_1)
	s_and_not1_b32 vcc_lo, exec_lo, s5
	s_cbranch_vccnz .LBB35_86
; %bb.76:
	s_load_b64 s[0:1], s[0:1], 0x48
	v_add_nc_u32_e32 v2, s28, v0
	s_wait_kmcnt 0x0
	v_cmp_ge_f64_e32 vcc_lo, s[0:1], v[8:9]
	s_and_b32 s1, s2, vcc_lo
	s_delay_alu instid0(SALU_CYCLE_1)
	s_and_saveexec_b32 s0, s1
	s_cbranch_execz .LBB35_81
; %bb.77:
	s_mov_b32 s3, exec_lo
	s_brev_b32 s1, -2
.LBB35_78:                              ; =>This Inner Loop Header: Depth=1
	s_ctz_i32_b32 s5, s3
	s_delay_alu instid0(SALU_CYCLE_1) | instskip(SKIP_1) | instid1(SALU_CYCLE_1)
	v_readlane_b32 s6, v2, s5
	s_lshl_b32 s5, 1, s5
	s_and_not1_b32 s3, s3, s5
	s_min_i32 s1, s1, s6
	s_cmp_lg_u32 s3, 0
	s_cbranch_scc1 .LBB35_78
; %bb.79:
	v_mbcnt_lo_u32_b32 v3, exec_lo, 0
	s_mov_b32 s3, exec_lo
	s_delay_alu instid0(VALU_DEP_1)
	v_cmpx_eq_u32_e32 0, v3
	s_xor_b32 s3, exec_lo, s3
	s_cbranch_execz .LBB35_81
; %bb.80:
	v_dual_mov_b32 v3, 0 :: v_dual_mov_b32 v4, s1
	global_atomic_min_i32 v3, v4, s[18:19] scope:SCOPE_DEV
.LBB35_81:
	s_wait_xcnt 0x0
	s_or_b32 exec_lo, exec_lo, s0
	v_cmp_eq_f32_e32 vcc_lo, 0, v6
	v_cmp_eq_f32_e64 s0, 0, v7
	s_and_b32 s0, vcc_lo, s0
	s_delay_alu instid0(SALU_CYCLE_1) | instskip(NEXT) | instid1(SALU_CYCLE_1)
	s_and_b32 s0, s2, s0
	s_and_b32 exec_lo, exec_lo, s0
	s_cbranch_execz .LBB35_86
; %bb.82:
	s_mov_b32 s1, exec_lo
	s_brev_b32 s0, -2
.LBB35_83:                              ; =>This Inner Loop Header: Depth=1
	s_ctz_i32_b32 s2, s1
	s_delay_alu instid0(SALU_CYCLE_1) | instskip(SKIP_1) | instid1(SALU_CYCLE_1)
	v_readlane_b32 s3, v2, s2
	s_lshl_b32 s2, 1, s2
	s_and_not1_b32 s1, s1, s2
	s_min_i32 s0, s0, s3
	s_cmp_lg_u32 s1, 0
	s_cbranch_scc1 .LBB35_83
; %bb.84:
	v_mbcnt_lo_u32_b32 v2, exec_lo, 0
	s_mov_b32 s1, exec_lo
	s_delay_alu instid0(VALU_DEP_1)
	v_cmpx_eq_u32_e32 0, v2
	s_xor_b32 s1, exec_lo, s1
	s_cbranch_execz .LBB35_86
; %bb.85:
	v_dual_mov_b32 v2, 0 :: v_dual_mov_b32 v3, s0
	global_atomic_min_i32 v2, v3, s[16:17] scope:SCOPE_DEV
.LBB35_86:
	s_wait_xcnt 0x0
	s_or_b32 exec_lo, exec_lo, s4
	v_cmp_eq_u32_e32 vcc_lo, 0, v14
	global_wb scope:SCOPE_DEV
	s_wait_loadcnt 0x0
	s_wait_storecnt 0x0
	global_inv scope:SCOPE_DEV
	s_and_b32 exec_lo, exec_lo, vcc_lo
	s_cbranch_execz .LBB35_88
; %bb.87:
	v_lshl_add_u64 v[0:1], v[0:1], 2, s[12:13]
	v_mov_b32_e32 v2, 1
	global_wb scope:SCOPE_DEV
	s_wait_loadcnt 0x0
	s_wait_storecnt 0x0
	global_store_b32 v[0:1], v2, off scope:SCOPE_DEV
.LBB35_88:
	s_endpgm
	.section	.rodata,"a",@progbits
	.p2align	6, 0x0
	.amdhsa_kernel _ZN9rocsparseL12csrilu0_hashILj256ELj64ELj4E21rocsparse_complex_numIfEEEviPKiS4_PT2_S4_PiS4_S7_S7_d21rocsparse_index_base_imNS_24const_host_device_scalarIfEENS9_IdEENS9_IS5_EEb
		.amdhsa_group_segment_fixed_size 8192
		.amdhsa_private_segment_fixed_size 0
		.amdhsa_kernarg_size 124
		.amdhsa_user_sgpr_count 2
		.amdhsa_user_sgpr_dispatch_ptr 0
		.amdhsa_user_sgpr_queue_ptr 0
		.amdhsa_user_sgpr_kernarg_segment_ptr 1
		.amdhsa_user_sgpr_dispatch_id 0
		.amdhsa_user_sgpr_kernarg_preload_length 0
		.amdhsa_user_sgpr_kernarg_preload_offset 0
		.amdhsa_user_sgpr_private_segment_size 0
		.amdhsa_wavefront_size32 1
		.amdhsa_uses_dynamic_stack 0
		.amdhsa_enable_private_segment 0
		.amdhsa_system_sgpr_workgroup_id_x 1
		.amdhsa_system_sgpr_workgroup_id_y 0
		.amdhsa_system_sgpr_workgroup_id_z 0
		.amdhsa_system_sgpr_workgroup_info 0
		.amdhsa_system_vgpr_workitem_id 0
		.amdhsa_next_free_vgpr 25
		.amdhsa_next_free_sgpr 42
		.amdhsa_named_barrier_count 0
		.amdhsa_reserve_vcc 1
		.amdhsa_float_round_mode_32 0
		.amdhsa_float_round_mode_16_64 0
		.amdhsa_float_denorm_mode_32 3
		.amdhsa_float_denorm_mode_16_64 3
		.amdhsa_fp16_overflow 0
		.amdhsa_memory_ordered 1
		.amdhsa_forward_progress 1
		.amdhsa_inst_pref_size 28
		.amdhsa_round_robin_scheduling 0
		.amdhsa_exception_fp_ieee_invalid_op 0
		.amdhsa_exception_fp_denorm_src 0
		.amdhsa_exception_fp_ieee_div_zero 0
		.amdhsa_exception_fp_ieee_overflow 0
		.amdhsa_exception_fp_ieee_underflow 0
		.amdhsa_exception_fp_ieee_inexact 0
		.amdhsa_exception_int_div_zero 0
	.end_amdhsa_kernel
	.section	.text._ZN9rocsparseL12csrilu0_hashILj256ELj64ELj4E21rocsparse_complex_numIfEEEviPKiS4_PT2_S4_PiS4_S7_S7_d21rocsparse_index_base_imNS_24const_host_device_scalarIfEENS9_IdEENS9_IS5_EEb,"axG",@progbits,_ZN9rocsparseL12csrilu0_hashILj256ELj64ELj4E21rocsparse_complex_numIfEEEviPKiS4_PT2_S4_PiS4_S7_S7_d21rocsparse_index_base_imNS_24const_host_device_scalarIfEENS9_IdEENS9_IS5_EEb,comdat
.Lfunc_end35:
	.size	_ZN9rocsparseL12csrilu0_hashILj256ELj64ELj4E21rocsparse_complex_numIfEEEviPKiS4_PT2_S4_PiS4_S7_S7_d21rocsparse_index_base_imNS_24const_host_device_scalarIfEENS9_IdEENS9_IS5_EEb, .Lfunc_end35-_ZN9rocsparseL12csrilu0_hashILj256ELj64ELj4E21rocsparse_complex_numIfEEEviPKiS4_PT2_S4_PiS4_S7_S7_d21rocsparse_index_base_imNS_24const_host_device_scalarIfEENS9_IdEENS9_IS5_EEb
                                        ; -- End function
	.set _ZN9rocsparseL12csrilu0_hashILj256ELj64ELj4E21rocsparse_complex_numIfEEEviPKiS4_PT2_S4_PiS4_S7_S7_d21rocsparse_index_base_imNS_24const_host_device_scalarIfEENS9_IdEENS9_IS5_EEb.num_vgpr, 25
	.set _ZN9rocsparseL12csrilu0_hashILj256ELj64ELj4E21rocsparse_complex_numIfEEEviPKiS4_PT2_S4_PiS4_S7_S7_d21rocsparse_index_base_imNS_24const_host_device_scalarIfEENS9_IdEENS9_IS5_EEb.num_agpr, 0
	.set _ZN9rocsparseL12csrilu0_hashILj256ELj64ELj4E21rocsparse_complex_numIfEEEviPKiS4_PT2_S4_PiS4_S7_S7_d21rocsparse_index_base_imNS_24const_host_device_scalarIfEENS9_IdEENS9_IS5_EEb.numbered_sgpr, 42
	.set _ZN9rocsparseL12csrilu0_hashILj256ELj64ELj4E21rocsparse_complex_numIfEEEviPKiS4_PT2_S4_PiS4_S7_S7_d21rocsparse_index_base_imNS_24const_host_device_scalarIfEENS9_IdEENS9_IS5_EEb.num_named_barrier, 0
	.set _ZN9rocsparseL12csrilu0_hashILj256ELj64ELj4E21rocsparse_complex_numIfEEEviPKiS4_PT2_S4_PiS4_S7_S7_d21rocsparse_index_base_imNS_24const_host_device_scalarIfEENS9_IdEENS9_IS5_EEb.private_seg_size, 0
	.set _ZN9rocsparseL12csrilu0_hashILj256ELj64ELj4E21rocsparse_complex_numIfEEEviPKiS4_PT2_S4_PiS4_S7_S7_d21rocsparse_index_base_imNS_24const_host_device_scalarIfEENS9_IdEENS9_IS5_EEb.uses_vcc, 1
	.set _ZN9rocsparseL12csrilu0_hashILj256ELj64ELj4E21rocsparse_complex_numIfEEEviPKiS4_PT2_S4_PiS4_S7_S7_d21rocsparse_index_base_imNS_24const_host_device_scalarIfEENS9_IdEENS9_IS5_EEb.uses_flat_scratch, 0
	.set _ZN9rocsparseL12csrilu0_hashILj256ELj64ELj4E21rocsparse_complex_numIfEEEviPKiS4_PT2_S4_PiS4_S7_S7_d21rocsparse_index_base_imNS_24const_host_device_scalarIfEENS9_IdEENS9_IS5_EEb.has_dyn_sized_stack, 0
	.set _ZN9rocsparseL12csrilu0_hashILj256ELj64ELj4E21rocsparse_complex_numIfEEEviPKiS4_PT2_S4_PiS4_S7_S7_d21rocsparse_index_base_imNS_24const_host_device_scalarIfEENS9_IdEENS9_IS5_EEb.has_recursion, 0
	.set _ZN9rocsparseL12csrilu0_hashILj256ELj64ELj4E21rocsparse_complex_numIfEEEviPKiS4_PT2_S4_PiS4_S7_S7_d21rocsparse_index_base_imNS_24const_host_device_scalarIfEENS9_IdEENS9_IS5_EEb.has_indirect_call, 0
	.section	.AMDGPU.csdata,"",@progbits
; Kernel info:
; codeLenInByte = 3524
; TotalNumSgprs: 44
; NumVgprs: 25
; ScratchSize: 0
; MemoryBound: 0
; FloatMode: 240
; IeeeMode: 1
; LDSByteSize: 8192 bytes/workgroup (compile time only)
; SGPRBlocks: 0
; VGPRBlocks: 1
; NumSGPRsForWavesPerEU: 44
; NumVGPRsForWavesPerEU: 25
; NamedBarCnt: 0
; Occupancy: 16
; WaveLimiterHint : 1
; COMPUTE_PGM_RSRC2:SCRATCH_EN: 0
; COMPUTE_PGM_RSRC2:USER_SGPR: 2
; COMPUTE_PGM_RSRC2:TRAP_HANDLER: 0
; COMPUTE_PGM_RSRC2:TGID_X_EN: 1
; COMPUTE_PGM_RSRC2:TGID_Y_EN: 0
; COMPUTE_PGM_RSRC2:TGID_Z_EN: 0
; COMPUTE_PGM_RSRC2:TIDIG_COMP_CNT: 0
	.section	.text._ZN9rocsparseL12csrilu0_hashILj256ELj64ELj8E21rocsparse_complex_numIfEEEviPKiS4_PT2_S4_PiS4_S7_S7_d21rocsparse_index_base_imNS_24const_host_device_scalarIfEENS9_IdEENS9_IS5_EEb,"axG",@progbits,_ZN9rocsparseL12csrilu0_hashILj256ELj64ELj8E21rocsparse_complex_numIfEEEviPKiS4_PT2_S4_PiS4_S7_S7_d21rocsparse_index_base_imNS_24const_host_device_scalarIfEENS9_IdEENS9_IS5_EEb,comdat
	.globl	_ZN9rocsparseL12csrilu0_hashILj256ELj64ELj8E21rocsparse_complex_numIfEEEviPKiS4_PT2_S4_PiS4_S7_S7_d21rocsparse_index_base_imNS_24const_host_device_scalarIfEENS9_IdEENS9_IS5_EEb ; -- Begin function _ZN9rocsparseL12csrilu0_hashILj256ELj64ELj8E21rocsparse_complex_numIfEEEviPKiS4_PT2_S4_PiS4_S7_S7_d21rocsparse_index_base_imNS_24const_host_device_scalarIfEENS9_IdEENS9_IS5_EEb
	.p2align	8
	.type	_ZN9rocsparseL12csrilu0_hashILj256ELj64ELj8E21rocsparse_complex_numIfEEEviPKiS4_PT2_S4_PiS4_S7_S7_d21rocsparse_index_base_imNS_24const_host_device_scalarIfEENS9_IdEENS9_IS5_EEb,@function
_ZN9rocsparseL12csrilu0_hashILj256ELj64ELj8E21rocsparse_complex_numIfEEEviPKiS4_PT2_S4_PiS4_S7_S7_d21rocsparse_index_base_imNS_24const_host_device_scalarIfEENS9_IdEENS9_IS5_EEb: ; @_ZN9rocsparseL12csrilu0_hashILj256ELj64ELj8E21rocsparse_complex_numIfEEEviPKiS4_PT2_S4_PiS4_S7_S7_d21rocsparse_index_base_imNS_24const_host_device_scalarIfEENS9_IdEENS9_IS5_EEb
; %bb.0:
	s_clause 0x2
	s_load_b32 s2, s[0:1], 0x78
	s_load_b64 s[28:29], s[0:1], 0x50
	s_load_b256 s[20:27], s[0:1], 0x58
	s_wait_kmcnt 0x0
	s_bitcmp1_b32 s2, 0
	s_cselect_b32 s4, -1, 0
	s_cmp_eq_u32 s29, 0
	s_cselect_b32 s2, -1, 0
	s_cmp_lg_u32 s29, 0
	s_cselect_b32 s5, -1, 0
	s_or_b32 s7, s2, s4
	s_delay_alu instid0(SALU_CYCLE_1)
	s_xor_b32 s6, s7, -1
	s_and_b32 s2, s2, exec_lo
	s_cselect_b32 s3, 0, s25
	s_cselect_b32 s2, 0, s24
	;; [unrolled: 1-line block ×3, first 2 shown]
	s_and_b32 vcc_lo, exec_lo, s7
	s_cbranch_vccnz .LBB36_2
; %bb.1:
	s_load_b32 s29, s[22:23], 0x0
	s_mov_b64 s[2:3], s[24:25]
.LBB36_2:
	s_delay_alu instid0(SALU_CYCLE_1)
	v_mov_b64_e32 v[2:3], s[2:3]
	s_and_not1_b32 vcc_lo, exec_lo, s6
	s_cbranch_vccnz .LBB36_4
; %bb.3:
	v_mov_b32_e32 v1, 0
	flat_load_b64 v[2:3], v1, s[24:25]
.LBB36_4:
	v_cndmask_b32_e64 v15, 0, 1, s5
	s_mov_b32 s3, 0
	s_and_not1_b32 vcc_lo, exec_lo, s5
	s_wait_xcnt 0x0
	s_mov_b32 s22, 0
	s_cbranch_vccnz .LBB36_10
; %bb.5:
	s_xor_b32 s2, s4, -1
	s_mov_b32 s3, s26
	v_cndmask_b32_e64 v1, 0, 1, s2
	s_and_not1_b32 vcc_lo, exec_lo, s2
	s_cbranch_vccnz .LBB36_7
; %bb.6:
	s_load_b32 s3, s[26:27], 0x0
.LBB36_7:
	s_delay_alu instid0(VALU_DEP_1)
	v_cmp_ne_u32_e32 vcc_lo, 1, v1
	s_cbranch_vccnz .LBB36_9
; %bb.8:
	s_wait_xcnt 0x0
	s_load_b32 s27, s[26:27], 0x4
.LBB36_9:
	s_wait_kmcnt 0x0
	s_mov_b32 s22, s27
.LBB36_10:
	s_load_b32 s2, s[0:1], 0x0
	s_bfe_u32 s4, ttmp6, 0x4000c
	v_dual_lshlrev_b32 v1, 3, v0 :: v_dual_bitop2_b32 v14, 63, v0 bitop3:0x40
	s_add_co_i32 s4, s4, 1
	s_and_b32 s5, ttmp6, 15
	s_mul_i32 s4, ttmp9, s4
	s_getreg_b32 s6, hwreg(HW_REG_IB_STS2, 6, 4)
	s_add_co_i32 s5, s5, s4
	s_cmp_eq_u32 s6, 0
	v_and_b32_e32 v9, 0x600, v1
	v_dual_mov_b32 v1, -1 :: v_dual_lshrrev_b32 v0, 6, v0
	s_cselect_b32 s4, ttmp9, s5
	s_delay_alu instid0(SALU_CYCLE_1) | instskip(NEXT) | instid1(VALU_DEP_2)
	s_lshl_b32 s4, s4, 2
	v_lshl_or_b32 v5, v9, 2, 0x2000
	s_delay_alu instid0(VALU_DEP_2) | instskip(NEXT) | instid1(VALU_DEP_2)
	v_and_or_b32 v0, 0x3fffffc, s4, v0
	v_lshl_or_b32 v4, v14, 2, v5
	s_wait_kmcnt 0x0
	s_delay_alu instid0(VALU_DEP_2)
	v_cmp_gt_i32_e32 vcc_lo, s2, v0
	ds_store_2addr_stride64_b32 v4, v1, v1 offset1:1
	ds_store_2addr_stride64_b32 v4, v1, v1 offset0:2 offset1:3
	ds_store_2addr_stride64_b32 v4, v1, v1 offset0:4 offset1:5
	;; [unrolled: 1-line block ×3, first 2 shown]
	s_wait_loadcnt_dscnt 0x0
	s_and_saveexec_b32 s2, vcc_lo
	s_cbranch_execz .LBB36_88
; %bb.11:
	s_load_b512 s[4:19], s[0:1], 0x8
	v_lshlrev_b32_e32 v16, 2, v9
	s_mov_b32 s2, exec_lo
	s_wait_kmcnt 0x0
	global_load_b32 v0, v0, s[14:15] scale_offset
	s_wait_loadcnt 0x0
	v_ashrrev_i32_e32 v1, 31, v0
	s_delay_alu instid0(VALU_DEP_1)
	v_lshl_add_u64 v[6:7], v[0:1], 2, s[4:5]
	global_load_b64 v[10:11], v[6:7], off
	global_load_b32 v4, v0, s[10:11] scale_offset
	s_wait_loadcnt 0x1
	s_wait_xcnt 0x1
	v_subrev_nc_u32_e32 v6, s28, v10
	v_subrev_nc_u32_e32 v7, s28, v11
	s_delay_alu instid0(VALU_DEP_2) | instskip(SKIP_1) | instid1(VALU_DEP_1)
	v_add_nc_u32_e32 v8, v6, v14
	s_wait_xcnt 0x0
	v_cmpx_lt_i32_e64 v8, v7
	s_cbranch_execz .LBB36_34
; %bb.12:
	v_mov_b32_e32 v9, -1
	s_mov_b32 s14, 0
	s_branch .LBB36_14
.LBB36_13:                              ;   in Loop: Header=BB36_14 Depth=1
	s_or_b32 exec_lo, exec_lo, s15
	v_add_nc_u32_e32 v8, 64, v8
	s_delay_alu instid0(VALU_DEP_1) | instskip(SKIP_1) | instid1(SALU_CYCLE_1)
	v_cmp_ge_i32_e32 vcc_lo, v8, v7
	s_or_b32 s14, vcc_lo, s14
	s_and_not1_b32 exec_lo, exec_lo, s14
	s_cbranch_execz .LBB36_34
.LBB36_14:                              ; =>This Loop Header: Depth=1
                                        ;     Child Loop BB36_23 Depth 2
	global_load_b32 v10, v8, s[6:7] scale_offset
	v_mov_b32_e32 v11, 0x200
	s_mov_b32 s15, 0
                                        ; implicit-def: $sgpr23
                                        ; implicit-def: $sgpr24
                                        ; implicit-def: $sgpr25
	s_wait_loadcnt 0x0
	v_mul_lo_u32 v13, 0x67, v10
	s_branch .LBB36_23
.LBB36_15:                              ;   in Loop: Header=BB36_23 Depth=2
	s_or_b32 exec_lo, exec_lo, s38
	s_delay_alu instid0(SALU_CYCLE_1)
	s_or_not1_b32 s36, s36, exec_lo
	s_or_not1_b32 s37, s37, exec_lo
.LBB36_16:                              ;   in Loop: Header=BB36_23 Depth=2
	s_or_b32 exec_lo, exec_lo, s35
	s_delay_alu instid0(SALU_CYCLE_1)
	s_and_b32 s36, s36, exec_lo
	s_or_not1_b32 s35, s37, exec_lo
.LBB36_17:                              ;   in Loop: Header=BB36_23 Depth=2
	s_or_b32 exec_lo, exec_lo, s34
	s_delay_alu instid0(SALU_CYCLE_1)
	s_or_not1_b32 s34, s36, exec_lo
	s_or_not1_b32 s35, s35, exec_lo
.LBB36_18:                              ;   in Loop: Header=BB36_23 Depth=2
	s_or_b32 exec_lo, exec_lo, s33
	s_delay_alu instid0(SALU_CYCLE_1)
	s_and_b32 s34, s34, exec_lo
	s_or_not1_b32 s33, s35, exec_lo
.LBB36_19:                              ;   in Loop: Header=BB36_23 Depth=2
	s_or_b32 exec_lo, exec_lo, s31
	s_delay_alu instid0(SALU_CYCLE_1)
	s_or_not1_b32 s31, s34, exec_lo
	s_or_not1_b32 s33, s33, exec_lo
.LBB36_20:                              ;   in Loop: Header=BB36_23 Depth=2
	s_or_b32 exec_lo, exec_lo, s30
	s_delay_alu instid0(SALU_CYCLE_1)
	s_and_b32 s31, s31, exec_lo
	s_or_not1_b32 s30, s33, exec_lo
.LBB36_21:                              ;   in Loop: Header=BB36_23 Depth=2
	s_or_b32 exec_lo, exec_lo, s27
	s_delay_alu instid0(SALU_CYCLE_1)
	s_and_not1_b32 s25, s25, exec_lo
	s_and_b32 s27, s31, exec_lo
	s_and_not1_b32 s24, s24, exec_lo
	s_and_b32 s30, s30, exec_lo
	s_or_b32 s25, s25, s27
	s_or_b32 s24, s24, s30
.LBB36_22:                              ;   in Loop: Header=BB36_23 Depth=2
	s_or_b32 exec_lo, exec_lo, s26
	s_delay_alu instid0(SALU_CYCLE_1) | instskip(NEXT) | instid1(SALU_CYCLE_1)
	s_and_b32 s26, exec_lo, s24
	s_or_b32 s15, s26, s15
	s_and_not1_b32 s23, s23, exec_lo
	s_and_b32 s26, s25, exec_lo
	s_delay_alu instid0(SALU_CYCLE_1)
	s_or_b32 s23, s23, s26
	s_and_not1_b32 exec_lo, exec_lo, s15
	s_cbranch_execz .LBB36_32
.LBB36_23:                              ;   Parent Loop BB36_14 Depth=1
                                        ; =>  This Inner Loop Header: Depth=2
	s_delay_alu instid0(VALU_DEP_1) | instskip(SKIP_3) | instid1(VALU_DEP_1)
	v_and_b32_e32 v12, 0x1ff, v13
	s_or_b32 s25, s25, exec_lo
	s_or_b32 s24, s24, exec_lo
	s_mov_b32 s26, exec_lo
	v_lshl_add_u32 v17, v12, 2, v5
	ds_load_b32 v18, v17
	s_wait_dscnt 0x0
	s_wait_xcnt 0x0
	v_cmpx_ne_u32_e64 v18, v10
	s_cbranch_execz .LBB36_22
; %bb.24:                               ;   in Loop: Header=BB36_23 Depth=2
	ds_cmpstore_rtn_b32 v17, v17, v10, v9
	s_mov_b32 s30, -1
	s_mov_b32 s31, 0
	s_mov_b32 s27, exec_lo
	s_wait_dscnt 0x0
	v_cmpx_ne_u32_e32 -1, v17
	s_cbranch_execz .LBB36_21
; %bb.25:                               ;   in Loop: Header=BB36_23 Depth=2
	v_add_nc_u32_e32 v12, 1, v13
	s_mov_b32 s33, -1
	s_mov_b32 s31, -1
	s_mov_b32 s30, exec_lo
	s_delay_alu instid0(VALU_DEP_1) | instskip(NEXT) | instid1(VALU_DEP_1)
	v_and_b32_e32 v12, 0x1ff, v12
	v_lshl_add_u32 v17, v12, 2, v5
	ds_load_b32 v18, v17
	s_wait_dscnt 0x0
	v_cmpx_ne_u32_e64 v18, v10
	s_cbranch_execz .LBB36_20
; %bb.26:                               ;   in Loop: Header=BB36_23 Depth=2
	ds_cmpstore_rtn_b32 v17, v17, v10, v9
	s_mov_b32 s34, 0
	s_mov_b32 s31, exec_lo
	s_wait_dscnt 0x0
	v_cmpx_ne_u32_e32 -1, v17
	s_cbranch_execz .LBB36_19
; %bb.27:                               ;   in Loop: Header=BB36_23 Depth=2
	v_add_nc_u32_e32 v12, 2, v13
	s_mov_b32 s35, -1
	s_mov_b32 s34, -1
	s_mov_b32 s33, exec_lo
	s_delay_alu instid0(VALU_DEP_1) | instskip(NEXT) | instid1(VALU_DEP_1)
	v_and_b32_e32 v12, 0x1ff, v12
	v_lshl_add_u32 v17, v12, 2, v5
	ds_load_b32 v18, v17
	s_wait_dscnt 0x0
	v_cmpx_ne_u32_e64 v18, v10
	s_cbranch_execz .LBB36_18
; %bb.28:                               ;   in Loop: Header=BB36_23 Depth=2
	ds_cmpstore_rtn_b32 v17, v17, v10, v9
	s_mov_b32 s36, 0
	s_mov_b32 s34, exec_lo
	s_wait_dscnt 0x0
	v_cmpx_ne_u32_e32 -1, v17
	s_cbranch_execz .LBB36_17
; %bb.29:                               ;   in Loop: Header=BB36_23 Depth=2
	v_add_nc_u32_e32 v12, 3, v13
	s_mov_b32 s37, -1
	s_mov_b32 s36, -1
	s_delay_alu instid0(VALU_DEP_1) | instskip(NEXT) | instid1(VALU_DEP_1)
	v_and_b32_e32 v12, 0x1ff, v12
	v_lshl_add_u32 v17, v12, 2, v5
	ds_load_b32 v13, v17
	s_wait_dscnt 0x0
	v_cmp_ne_u32_e32 vcc_lo, v13, v10
                                        ; implicit-def: $vgpr13
	s_and_saveexec_b32 s35, vcc_lo
	s_cbranch_execz .LBB36_16
; %bb.30:                               ;   in Loop: Header=BB36_23 Depth=2
	ds_cmpstore_rtn_b32 v13, v17, v10, v9
	s_mov_b32 s36, 0
	s_wait_dscnt 0x0
	v_cmp_ne_u32_e32 vcc_lo, -1, v13
                                        ; implicit-def: $vgpr13
	s_and_saveexec_b32 s38, vcc_lo
	s_cbranch_execz .LBB36_15
; %bb.31:                               ;   in Loop: Header=BB36_23 Depth=2
	v_dual_add_nc_u32 v11, -4, v11 :: v_dual_add_nc_u32 v13, 1, v12
	s_mov_b32 s36, exec_lo
	s_delay_alu instid0(VALU_DEP_1)
	v_cmp_eq_u32_e32 vcc_lo, 0, v11
	s_or_not1_b32 s37, vcc_lo, exec_lo
	s_branch .LBB36_15
.LBB36_32:                              ;   in Loop: Header=BB36_14 Depth=1
	s_or_b32 exec_lo, exec_lo, s15
	s_xor_b32 s15, s23, -1
	s_delay_alu instid0(SALU_CYCLE_1) | instskip(NEXT) | instid1(SALU_CYCLE_1)
	s_and_saveexec_b32 s23, s15
	s_xor_b32 s15, exec_lo, s23
	s_cbranch_execz .LBB36_13
; %bb.33:                               ;   in Loop: Header=BB36_14 Depth=1
	v_lshl_add_u32 v10, v12, 2, v16
	ds_store_b32 v10, v8
	s_branch .LBB36_13
.LBB36_34:
	s_or_b32 exec_lo, exec_lo, s2
	s_delay_alu instid0(SALU_CYCLE_1)
	s_mov_b32 s14, exec_lo
	s_wait_loadcnt_dscnt 0x0
	v_cmpx_lt_i32_e64 v6, v4
	s_cbranch_execz .LBB36_64
; %bb.35:
	v_add_nc_u32_e32 v17, 1, v14
	s_mov_b32 s15, 0
	s_branch .LBB36_38
.LBB36_36:                              ;   in Loop: Header=BB36_38 Depth=1
	s_or_b32 exec_lo, exec_lo, s23
	v_add_nc_u32_e32 v6, 1, v6
	s_delay_alu instid0(VALU_DEP_1)
	v_cmp_ge_i32_e32 vcc_lo, v6, v4
	s_or_not1_b32 s23, vcc_lo, exec_lo
.LBB36_37:                              ;   in Loop: Header=BB36_38 Depth=1
	s_or_b32 exec_lo, exec_lo, s2
	s_delay_alu instid0(SALU_CYCLE_1) | instskip(NEXT) | instid1(SALU_CYCLE_1)
	s_and_b32 s2, exec_lo, s23
	s_or_b32 s15, s2, s15
	s_delay_alu instid0(SALU_CYCLE_1)
	s_and_not1_b32 exec_lo, exec_lo, s15
	s_cbranch_execz .LBB36_64
.LBB36_38:                              ; =>This Loop Header: Depth=1
                                        ;     Child Loop BB36_39 Depth 2
                                        ;     Child Loop BB36_44 Depth 2
                                        ;       Child Loop BB36_53 Depth 3
	s_clause 0x1
	global_load_b32 v7, v6, s[6:7] scale_offset
	global_load_b64 v[8:9], v6, s[8:9] scale_offset
	s_mov_b32 s2, 0
	s_wait_loadcnt 0x1
	v_subrev_nc_u32_e32 v10, s28, v7
	v_ashrrev_i32_e32 v7, 31, v6
	s_clause 0x1
	global_load_b32 v19, v10, s[4:5] offset:4 scale_offset
	global_load_b32 v18, v10, s[10:11] scale_offset
	v_ashrrev_i32_e32 v11, 31, v10
	v_lshl_add_u64 v[12:13], v[6:7], 3, s[8:9]
	s_wait_xcnt 0x0
	s_delay_alu instid0(VALU_DEP_2)
	v_lshl_add_u64 v[10:11], v[10:11], 2, s[12:13]
.LBB36_39:                              ;   Parent Loop BB36_38 Depth=1
                                        ; =>  This Inner Loop Header: Depth=2
	global_load_b32 v7, v[10:11], off scope:SCOPE_DEV
	s_wait_loadcnt 0x0
	v_cmp_ne_u32_e32 vcc_lo, 0, v7
	s_or_b32 s2, vcc_lo, s2
	s_wait_xcnt 0x0
	s_and_not1_b32 exec_lo, exec_lo, s2
	s_cbranch_execnz .LBB36_39
; %bb.40:                               ;   in Loop: Header=BB36_38 Depth=1
	s_or_b32 exec_lo, exec_lo, s2
	v_subrev_nc_u32_e32 v7, s28, v19
	v_cmp_eq_u32_e32 vcc_lo, -1, v18
	global_inv scope:SCOPE_DEV
	s_mov_b32 s23, -1
	v_add_nc_u32_e32 v10, -1, v7
	s_delay_alu instid0(VALU_DEP_1)
	v_cndmask_b32_e32 v18, v18, v10, vcc_lo
	global_load_b64 v[10:11], v18, s[8:9] scale_offset
	s_wait_loadcnt 0x0
	v_cmp_neq_f32_e32 vcc_lo, 0, v10
	v_cmp_neq_f32_e64 s2, 0, v11
	s_or_b32 s24, vcc_lo, s2
	s_wait_xcnt 0x0
	s_and_saveexec_b32 s2, s24
	s_cbranch_execz .LBB36_37
; %bb.41:                               ;   in Loop: Header=BB36_38 Depth=1
	v_mul_f32_e32 v19, v11, v11
	s_mov_b32 s23, exec_lo
	s_delay_alu instid0(VALU_DEP_1) | instskip(NEXT) | instid1(VALU_DEP_1)
	v_fmac_f32_e32 v19, v10, v10
	v_div_scale_f32 v20, null, v19, v19, 1.0
	v_div_scale_f32 v23, vcc_lo, 1.0, v19, 1.0
	s_delay_alu instid0(VALU_DEP_2) | instskip(SKIP_1) | instid1(TRANS32_DEP_1)
	v_rcp_f32_e32 v21, v20
	v_nop
	v_fma_f32 v22, -v20, v21, 1.0
	s_delay_alu instid0(VALU_DEP_1) | instskip(NEXT) | instid1(VALU_DEP_1)
	v_fmac_f32_e32 v21, v22, v21
	v_mul_f32_e32 v22, v23, v21
	s_delay_alu instid0(VALU_DEP_1) | instskip(NEXT) | instid1(VALU_DEP_1)
	v_fma_f32 v24, -v20, v22, v23
	v_fmac_f32_e32 v22, v24, v21
	s_delay_alu instid0(VALU_DEP_1) | instskip(NEXT) | instid1(VALU_DEP_1)
	v_dual_fma_f32 v23, -v20, v22, v23 :: v_dual_mov_b32 v20, v11
	v_div_fmas_f32 v11, v23, v21, v22
	s_delay_alu instid0(VALU_DEP_2) | instskip(NEXT) | instid1(VALU_DEP_2)
	v_pk_mul_f32 v[20:21], v[8:9], v[20:21] op_sel:[1,0] op_sel_hi:[0,0] neg_hi:[1,0]
	v_div_fixup_f32 v22, v11, v19, 1.0
	s_delay_alu instid0(VALU_DEP_2) | instskip(SKIP_1) | instid1(VALU_DEP_2)
	v_pk_fma_f32 v[10:11], v[8:9], v[10:11], v[20:21] op_sel_hi:[1,0,1]
	v_add_nc_u32_e32 v8, v17, v18
	v_pk_mul_f32 v[10:11], v[10:11], v[22:23] op_sel_hi:[1,0]
	global_store_b64 v[12:13], v[10:11], off
	s_wait_xcnt 0x0
	v_cmpx_lt_i32_e64 v8, v7
	s_cbranch_execz .LBB36_36
; %bb.42:                               ;   in Loop: Header=BB36_38 Depth=1
	v_xor_b32_e32 v13, 0x80000000, v10
	v_mov_b32_e32 v12, v11
	s_mov_b32 s24, 0
	s_branch .LBB36_44
.LBB36_43:                              ;   in Loop: Header=BB36_44 Depth=2
	s_wait_xcnt 0x0
	s_or_b32 exec_lo, exec_lo, s25
	v_add_nc_u32_e32 v8, 64, v8
	s_delay_alu instid0(VALU_DEP_1) | instskip(SKIP_1) | instid1(SALU_CYCLE_1)
	v_cmp_ge_i32_e32 vcc_lo, v8, v7
	s_or_b32 s24, vcc_lo, s24
	s_and_not1_b32 exec_lo, exec_lo, s24
	s_cbranch_execz .LBB36_36
.LBB36_44:                              ;   Parent Loop BB36_38 Depth=1
                                        ; =>  This Loop Header: Depth=2
                                        ;       Child Loop BB36_53 Depth 3
	global_load_b32 v18, v8, s[6:7] scale_offset
	v_ashrrev_i32_e32 v9, 31, v8
	v_mov_b32_e32 v19, 0x200
	s_mov_b32 s25, 0
                                        ; implicit-def: $sgpr26
                                        ; implicit-def: $sgpr27
                                        ; implicit-def: $sgpr30
	s_wait_loadcnt 0x0
	v_mul_lo_u32 v21, 0x67, v18
	s_branch .LBB36_53
.LBB36_45:                              ;   in Loop: Header=BB36_53 Depth=3
	s_or_b32 exec_lo, exec_lo, s41
	s_delay_alu instid0(SALU_CYCLE_1)
	s_or_not1_b32 s39, s39, exec_lo
	s_or_not1_b32 s40, s40, exec_lo
.LBB36_46:                              ;   in Loop: Header=BB36_53 Depth=3
	s_or_b32 exec_lo, exec_lo, s38
	s_delay_alu instid0(SALU_CYCLE_1)
	s_and_b32 s39, s39, exec_lo
	s_or_not1_b32 s38, s40, exec_lo
.LBB36_47:                              ;   in Loop: Header=BB36_53 Depth=3
	s_or_b32 exec_lo, exec_lo, s37
	s_delay_alu instid0(SALU_CYCLE_1)
	s_or_not1_b32 s37, s39, exec_lo
	s_or_not1_b32 s38, s38, exec_lo
.LBB36_48:                              ;   in Loop: Header=BB36_53 Depth=3
	s_or_b32 exec_lo, exec_lo, s36
	s_delay_alu instid0(SALU_CYCLE_1)
	s_and_b32 s37, s37, exec_lo
	s_or_not1_b32 s36, s38, exec_lo
.LBB36_49:                              ;   in Loop: Header=BB36_53 Depth=3
	s_or_b32 exec_lo, exec_lo, s35
	s_delay_alu instid0(SALU_CYCLE_1)
	s_or_not1_b32 s35, s37, exec_lo
	s_or_not1_b32 s36, s36, exec_lo
.LBB36_50:                              ;   in Loop: Header=BB36_53 Depth=3
	s_or_b32 exec_lo, exec_lo, s34
	s_delay_alu instid0(SALU_CYCLE_1)
	s_and_b32 s35, s35, exec_lo
	s_or_not1_b32 s34, s36, exec_lo
.LBB36_51:                              ;   in Loop: Header=BB36_53 Depth=3
	s_or_b32 exec_lo, exec_lo, s33
	s_delay_alu instid0(SALU_CYCLE_1)
	s_and_not1_b32 s30, s30, exec_lo
	s_and_b32 s33, s35, exec_lo
	s_and_not1_b32 s27, s27, exec_lo
	s_and_b32 s34, s34, exec_lo
	s_or_b32 s30, s30, s33
	s_or_b32 s27, s27, s34
.LBB36_52:                              ;   in Loop: Header=BB36_53 Depth=3
	s_or_b32 exec_lo, exec_lo, s31
	s_delay_alu instid0(SALU_CYCLE_1) | instskip(NEXT) | instid1(SALU_CYCLE_1)
	s_and_b32 s31, exec_lo, s27
	s_or_b32 s25, s31, s25
	s_and_not1_b32 s26, s26, exec_lo
	s_and_b32 s31, s30, exec_lo
	s_delay_alu instid0(SALU_CYCLE_1)
	s_or_b32 s26, s26, s31
	s_and_not1_b32 exec_lo, exec_lo, s25
	s_cbranch_execz .LBB36_62
.LBB36_53:                              ;   Parent Loop BB36_38 Depth=1
                                        ;     Parent Loop BB36_44 Depth=2
                                        ; =>    This Inner Loop Header: Depth=3
	s_delay_alu instid0(VALU_DEP_1) | instskip(SKIP_3) | instid1(VALU_DEP_1)
	v_and_b32_e32 v20, 0x1ff, v21
	s_or_b32 s30, s30, exec_lo
	s_or_b32 s27, s27, exec_lo
	s_mov_b32 s31, exec_lo
	v_lshl_add_u32 v22, v20, 2, v5
	ds_load_b32 v22, v22
	s_wait_dscnt 0x0
	s_wait_xcnt 0x0
	v_cmpx_ne_u32_e32 -1, v22
	s_cbranch_execz .LBB36_52
; %bb.54:                               ;   in Loop: Header=BB36_53 Depth=3
	s_mov_b32 s34, -1
	s_mov_b32 s35, 0
	s_mov_b32 s33, exec_lo
	v_cmpx_ne_u32_e64 v22, v18
	s_cbranch_execz .LBB36_51
; %bb.55:                               ;   in Loop: Header=BB36_53 Depth=3
	v_add_nc_u32_e32 v20, 1, v21
	s_mov_b32 s36, -1
	s_mov_b32 s35, -1
	s_mov_b32 s34, exec_lo
	s_delay_alu instid0(VALU_DEP_1) | instskip(NEXT) | instid1(VALU_DEP_1)
	v_and_b32_e32 v20, 0x1ff, v20
	v_lshl_add_u32 v22, v20, 2, v5
	ds_load_b32 v22, v22
	s_wait_dscnt 0x0
	v_cmpx_ne_u32_e32 -1, v22
	s_cbranch_execz .LBB36_50
; %bb.56:                               ;   in Loop: Header=BB36_53 Depth=3
	s_mov_b32 s37, 0
	s_mov_b32 s35, exec_lo
	v_cmpx_ne_u32_e64 v22, v18
	s_cbranch_execz .LBB36_49
; %bb.57:                               ;   in Loop: Header=BB36_53 Depth=3
	v_add_nc_u32_e32 v20, 2, v21
	s_mov_b32 s38, -1
	s_mov_b32 s37, -1
	s_mov_b32 s36, exec_lo
	s_delay_alu instid0(VALU_DEP_1) | instskip(NEXT) | instid1(VALU_DEP_1)
	v_and_b32_e32 v20, 0x1ff, v20
	v_lshl_add_u32 v22, v20, 2, v5
	ds_load_b32 v22, v22
	s_wait_dscnt 0x0
	v_cmpx_ne_u32_e32 -1, v22
	s_cbranch_execz .LBB36_48
; %bb.58:                               ;   in Loop: Header=BB36_53 Depth=3
	s_mov_b32 s39, 0
	s_mov_b32 s37, exec_lo
	v_cmpx_ne_u32_e64 v22, v18
	s_cbranch_execz .LBB36_47
; %bb.59:                               ;   in Loop: Header=BB36_53 Depth=3
	v_add_nc_u32_e32 v20, 3, v21
	s_mov_b32 s40, -1
	s_mov_b32 s39, -1
	s_mov_b32 s38, exec_lo
	s_delay_alu instid0(VALU_DEP_1) | instskip(NEXT) | instid1(VALU_DEP_1)
	v_and_b32_e32 v20, 0x1ff, v20
	v_lshl_add_u32 v21, v20, 2, v5
	ds_load_b32 v22, v21
                                        ; implicit-def: $vgpr21
	s_wait_dscnt 0x0
	v_cmpx_ne_u32_e32 -1, v22
	s_cbranch_execz .LBB36_46
; %bb.60:                               ;   in Loop: Header=BB36_53 Depth=3
	s_mov_b32 s39, 0
	s_mov_b32 s41, exec_lo
                                        ; implicit-def: $vgpr21
	v_cmpx_ne_u32_e64 v22, v18
	s_cbranch_execz .LBB36_45
; %bb.61:                               ;   in Loop: Header=BB36_53 Depth=3
	v_dual_add_nc_u32 v19, -4, v19 :: v_dual_add_nc_u32 v21, 1, v20
	s_mov_b32 s39, exec_lo
	s_delay_alu instid0(VALU_DEP_1)
	v_cmp_eq_u32_e32 vcc_lo, 0, v19
	s_or_not1_b32 s40, vcc_lo, exec_lo
	s_branch .LBB36_45
.LBB36_62:                              ;   in Loop: Header=BB36_44 Depth=2
	s_or_b32 exec_lo, exec_lo, s25
	s_xor_b32 s25, s26, -1
	s_delay_alu instid0(SALU_CYCLE_1) | instskip(NEXT) | instid1(SALU_CYCLE_1)
	s_and_saveexec_b32 s26, s25
	s_xor_b32 s25, exec_lo, s26
	s_cbranch_execz .LBB36_43
; %bb.63:                               ;   in Loop: Header=BB36_44 Depth=2
	v_lshl_add_u32 v18, v20, 2, v16
	ds_load_b32 v24, v18
	v_lshl_add_u64 v[18:19], v[8:9], 3, s[8:9]
	global_load_b64 v[20:21], v[18:19], off
	s_wait_dscnt 0x0
	global_load_b64 v[22:23], v24, s[8:9] scale_offset
	s_wait_loadcnt 0x0
	s_wait_xcnt 0x1
	v_pk_fma_f32 v[18:19], v[10:11], v[20:21], v[22:23] op_sel_hi:[1,0,1] neg_lo:[1,0,0] neg_hi:[1,0,0]
	s_delay_alu instid0(VALU_DEP_1)
	v_pk_fma_f32 v[18:19], v[12:13], v[20:21], v[18:19] op_sel:[0,1,0]
	global_store_b64 v24, v[18:19], s[8:9] scale_offset
	s_branch .LBB36_43
.LBB36_64:
	s_or_b32 exec_lo, exec_lo, s14
	s_delay_alu instid0(SALU_CYCLE_1)
	s_mov_b32 s4, exec_lo
	s_wait_storecnt 0x0
	v_cmpx_lt_i32_e32 -1, v4
	s_cbranch_execz .LBB36_86
; %bb.65:
	global_load_b64 v[6:7], v4, s[8:9] scale_offset
	v_mov_b32_e32 v5, 0
                                        ; implicit-def: $vgpr10
	s_mov_b32 s2, exec_lo
	s_wait_loadcnt 0x0
	v_cmp_gt_f32_e32 vcc_lo, 0, v6
	v_cndmask_b32_e64 v8, v6, -v6, vcc_lo
	v_cmp_gt_f32_e32 vcc_lo, 0, v7
	v_cndmask_b32_e64 v9, v7, -v7, vcc_lo
	s_delay_alu instid0(VALU_DEP_1)
	v_cmpx_ngt_f32_e32 v8, v9
	s_xor_b32 s5, exec_lo, s2
	s_cbranch_execz .LBB36_69
; %bb.66:
	v_mov_b32_e32 v10, 0
	s_mov_b32 s6, exec_lo
	v_cmpx_neq_f32_e32 0, v7
	s_cbranch_execz .LBB36_68
; %bb.67:
	v_div_scale_f32 v10, null, v9, v9, v8
	v_div_scale_f32 v13, vcc_lo, v8, v9, v8
	s_delay_alu instid0(VALU_DEP_2) | instskip(SKIP_1) | instid1(TRANS32_DEP_1)
	v_rcp_f32_e32 v11, v10
	v_nop
	v_fma_f32 v12, -v10, v11, 1.0
	s_delay_alu instid0(VALU_DEP_1) | instskip(NEXT) | instid1(VALU_DEP_1)
	v_fmac_f32_e32 v11, v12, v11
	v_mul_f32_e32 v12, v13, v11
	s_delay_alu instid0(VALU_DEP_1) | instskip(NEXT) | instid1(VALU_DEP_1)
	v_fma_f32 v16, -v10, v12, v13
	v_fmac_f32_e32 v12, v16, v11
	s_delay_alu instid0(VALU_DEP_1) | instskip(NEXT) | instid1(VALU_DEP_1)
	v_fma_f32 v10, -v10, v12, v13
	v_div_fmas_f32 v10, v10, v11, v12
	s_delay_alu instid0(VALU_DEP_1) | instskip(NEXT) | instid1(VALU_DEP_1)
	v_div_fixup_f32 v8, v10, v9, v8
	v_fma_f32 v8, v8, v8, 1.0
	s_delay_alu instid0(VALU_DEP_1) | instskip(SKIP_1) | instid1(VALU_DEP_2)
	v_mul_f32_e32 v10, 0x4f800000, v8
	v_cmp_gt_f32_e32 vcc_lo, 0xf800000, v8
	v_cndmask_b32_e32 v8, v8, v10, vcc_lo
	s_delay_alu instid0(VALU_DEP_1) | instskip(SKIP_1) | instid1(TRANS32_DEP_1)
	v_sqrt_f32_e32 v10, v8
	v_nop
	v_dual_add_nc_u32 v11, -1, v10 :: v_dual_add_nc_u32 v12, 1, v10
	s_delay_alu instid0(VALU_DEP_1) | instskip(NEXT) | instid1(VALU_DEP_1)
	v_fma_f32 v13, -v11, v10, v8
	v_cmp_ge_f32_e64 s2, 0, v13
	s_delay_alu instid0(VALU_DEP_1) | instskip(NEXT) | instid1(VALU_DEP_1)
	v_dual_fma_f32 v16, -v12, v10, v8 :: v_dual_cndmask_b32 v10, v10, v11, s2
	v_cmp_lt_f32_e64 s2, 0, v16
	s_delay_alu instid0(VALU_DEP_1) | instskip(NEXT) | instid1(VALU_DEP_1)
	v_cndmask_b32_e64 v10, v10, v12, s2
	v_mul_f32_e32 v11, 0x37800000, v10
	s_delay_alu instid0(VALU_DEP_1) | instskip(SKIP_1) | instid1(VALU_DEP_2)
	v_cndmask_b32_e32 v10, v10, v11, vcc_lo
	v_cmp_class_f32_e64 vcc_lo, v8, 0x260
	v_cndmask_b32_e32 v8, v10, v8, vcc_lo
	s_delay_alu instid0(VALU_DEP_1)
	v_mul_f32_e32 v10, v9, v8
.LBB36_68:
	s_or_b32 exec_lo, exec_lo, s6
                                        ; implicit-def: $vgpr8
                                        ; implicit-def: $vgpr9
.LBB36_69:
	s_and_not1_saveexec_b32 s5, s5
	s_cbranch_execz .LBB36_71
; %bb.70:
	v_div_scale_f32 v10, null, v8, v8, v9
	v_div_scale_f32 v13, vcc_lo, v9, v8, v9
	s_delay_alu instid0(VALU_DEP_2) | instskip(SKIP_1) | instid1(TRANS32_DEP_1)
	v_rcp_f32_e32 v11, v10
	v_nop
	v_fma_f32 v12, -v10, v11, 1.0
	s_delay_alu instid0(VALU_DEP_1) | instskip(NEXT) | instid1(VALU_DEP_1)
	v_fmac_f32_e32 v11, v12, v11
	v_mul_f32_e32 v12, v13, v11
	s_delay_alu instid0(VALU_DEP_1) | instskip(NEXT) | instid1(VALU_DEP_1)
	v_fma_f32 v16, -v10, v12, v13
	v_fmac_f32_e32 v12, v16, v11
	s_delay_alu instid0(VALU_DEP_1) | instskip(NEXT) | instid1(VALU_DEP_1)
	v_fma_f32 v10, -v10, v12, v13
	v_div_fmas_f32 v10, v10, v11, v12
	s_delay_alu instid0(VALU_DEP_1) | instskip(NEXT) | instid1(VALU_DEP_1)
	v_div_fixup_f32 v9, v10, v8, v9
	v_fma_f32 v9, v9, v9, 1.0
	s_delay_alu instid0(VALU_DEP_1) | instskip(SKIP_1) | instid1(VALU_DEP_2)
	v_mul_f32_e32 v10, 0x4f800000, v9
	v_cmp_gt_f32_e32 vcc_lo, 0xf800000, v9
	v_cndmask_b32_e32 v9, v9, v10, vcc_lo
	s_delay_alu instid0(VALU_DEP_1) | instskip(SKIP_1) | instid1(TRANS32_DEP_1)
	v_sqrt_f32_e32 v10, v9
	v_nop
	v_dual_add_nc_u32 v11, -1, v10 :: v_dual_add_nc_u32 v12, 1, v10
	s_delay_alu instid0(VALU_DEP_1) | instskip(NEXT) | instid1(VALU_DEP_1)
	v_fma_f32 v13, -v11, v10, v9
	v_cmp_ge_f32_e64 s2, 0, v13
	s_delay_alu instid0(VALU_DEP_1) | instskip(NEXT) | instid1(VALU_DEP_1)
	v_dual_fma_f32 v16, -v12, v10, v9 :: v_dual_cndmask_b32 v10, v10, v11, s2
	v_cmp_lt_f32_e64 s2, 0, v16
	s_delay_alu instid0(VALU_DEP_1) | instskip(NEXT) | instid1(VALU_DEP_1)
	v_cndmask_b32_e64 v10, v10, v12, s2
	v_mul_f32_e32 v11, 0x37800000, v10
	s_delay_alu instid0(VALU_DEP_1) | instskip(SKIP_1) | instid1(VALU_DEP_2)
	v_cndmask_b32_e32 v10, v10, v11, vcc_lo
	v_cmp_class_f32_e64 vcc_lo, v9, 0x260
	v_cndmask_b32_e32 v9, v10, v9, vcc_lo
	s_delay_alu instid0(VALU_DEP_1)
	v_mul_f32_e32 v10, v8, v9
.LBB36_71:
	s_or_b32 exec_lo, exec_lo, s5
	s_delay_alu instid0(VALU_DEP_1)
	v_cvt_f64_f32_e32 v[8:9], v10
	v_cmp_ne_u32_e32 vcc_lo, 1, v15
	v_cmp_eq_u32_e64 s2, 0, v14
	s_mov_b32 s5, -1
	s_cbranch_vccnz .LBB36_75
; %bb.72:
	v_cvt_f64_f32_e32 v[10:11], s29
	s_cmp_eq_u64 s[20:21], 8
	s_cselect_b32 vcc_lo, -1, 0
	s_delay_alu instid0(VALU_DEP_1) | instskip(NEXT) | instid1(VALU_DEP_1)
	v_dual_cndmask_b32 v3, v11, v3 :: v_dual_cndmask_b32 v2, v10, v2
	v_cmp_ge_f64_e32 vcc_lo, v[2:3], v[8:9]
	s_and_b32 s6, s2, vcc_lo
	s_delay_alu instid0(SALU_CYCLE_1)
	s_and_saveexec_b32 s5, s6
	s_cbranch_execz .LBB36_74
; %bb.73:
	v_lshl_add_u64 v[2:3], v[4:5], 3, s[8:9]
	v_dual_mov_b32 v4, s3 :: v_dual_mov_b32 v5, s22
	global_store_b64 v[2:3], v[4:5], off
	global_wb scope:SCOPE_DEV
	s_wait_storecnt 0x0
	global_inv scope:SCOPE_DEV
.LBB36_74:
	s_wait_xcnt 0x0
	s_or_b32 exec_lo, exec_lo, s5
	s_mov_b32 s5, 0
.LBB36_75:
	s_delay_alu instid0(SALU_CYCLE_1)
	s_and_not1_b32 vcc_lo, exec_lo, s5
	s_cbranch_vccnz .LBB36_86
; %bb.76:
	s_load_b64 s[0:1], s[0:1], 0x48
	v_add_nc_u32_e32 v2, s28, v0
	s_wait_kmcnt 0x0
	v_cmp_ge_f64_e32 vcc_lo, s[0:1], v[8:9]
	s_and_b32 s1, s2, vcc_lo
	s_delay_alu instid0(SALU_CYCLE_1)
	s_and_saveexec_b32 s0, s1
	s_cbranch_execz .LBB36_81
; %bb.77:
	s_mov_b32 s3, exec_lo
	s_brev_b32 s1, -2
.LBB36_78:                              ; =>This Inner Loop Header: Depth=1
	s_ctz_i32_b32 s5, s3
	s_delay_alu instid0(SALU_CYCLE_1) | instskip(SKIP_1) | instid1(SALU_CYCLE_1)
	v_readlane_b32 s6, v2, s5
	s_lshl_b32 s5, 1, s5
	s_and_not1_b32 s3, s3, s5
	s_min_i32 s1, s1, s6
	s_cmp_lg_u32 s3, 0
	s_cbranch_scc1 .LBB36_78
; %bb.79:
	v_mbcnt_lo_u32_b32 v3, exec_lo, 0
	s_mov_b32 s3, exec_lo
	s_delay_alu instid0(VALU_DEP_1)
	v_cmpx_eq_u32_e32 0, v3
	s_xor_b32 s3, exec_lo, s3
	s_cbranch_execz .LBB36_81
; %bb.80:
	v_dual_mov_b32 v3, 0 :: v_dual_mov_b32 v4, s1
	global_atomic_min_i32 v3, v4, s[18:19] scope:SCOPE_DEV
.LBB36_81:
	s_wait_xcnt 0x0
	s_or_b32 exec_lo, exec_lo, s0
	v_cmp_eq_f32_e32 vcc_lo, 0, v6
	v_cmp_eq_f32_e64 s0, 0, v7
	s_and_b32 s0, vcc_lo, s0
	s_delay_alu instid0(SALU_CYCLE_1) | instskip(NEXT) | instid1(SALU_CYCLE_1)
	s_and_b32 s0, s2, s0
	s_and_b32 exec_lo, exec_lo, s0
	s_cbranch_execz .LBB36_86
; %bb.82:
	s_mov_b32 s1, exec_lo
	s_brev_b32 s0, -2
.LBB36_83:                              ; =>This Inner Loop Header: Depth=1
	s_ctz_i32_b32 s2, s1
	s_delay_alu instid0(SALU_CYCLE_1) | instskip(SKIP_1) | instid1(SALU_CYCLE_1)
	v_readlane_b32 s3, v2, s2
	s_lshl_b32 s2, 1, s2
	s_and_not1_b32 s1, s1, s2
	s_min_i32 s0, s0, s3
	s_cmp_lg_u32 s1, 0
	s_cbranch_scc1 .LBB36_83
; %bb.84:
	v_mbcnt_lo_u32_b32 v2, exec_lo, 0
	s_mov_b32 s1, exec_lo
	s_delay_alu instid0(VALU_DEP_1)
	v_cmpx_eq_u32_e32 0, v2
	s_xor_b32 s1, exec_lo, s1
	s_cbranch_execz .LBB36_86
; %bb.85:
	v_dual_mov_b32 v2, 0 :: v_dual_mov_b32 v3, s0
	global_atomic_min_i32 v2, v3, s[16:17] scope:SCOPE_DEV
.LBB36_86:
	s_wait_xcnt 0x0
	s_or_b32 exec_lo, exec_lo, s4
	v_cmp_eq_u32_e32 vcc_lo, 0, v14
	global_wb scope:SCOPE_DEV
	s_wait_loadcnt 0x0
	s_wait_storecnt 0x0
	global_inv scope:SCOPE_DEV
	s_and_b32 exec_lo, exec_lo, vcc_lo
	s_cbranch_execz .LBB36_88
; %bb.87:
	v_lshl_add_u64 v[0:1], v[0:1], 2, s[12:13]
	v_mov_b32_e32 v2, 1
	global_wb scope:SCOPE_DEV
	s_wait_loadcnt 0x0
	s_wait_storecnt 0x0
	global_store_b32 v[0:1], v2, off scope:SCOPE_DEV
.LBB36_88:
	s_endpgm
	.section	.rodata,"a",@progbits
	.p2align	6, 0x0
	.amdhsa_kernel _ZN9rocsparseL12csrilu0_hashILj256ELj64ELj8E21rocsparse_complex_numIfEEEviPKiS4_PT2_S4_PiS4_S7_S7_d21rocsparse_index_base_imNS_24const_host_device_scalarIfEENS9_IdEENS9_IS5_EEb
		.amdhsa_group_segment_fixed_size 16384
		.amdhsa_private_segment_fixed_size 0
		.amdhsa_kernarg_size 124
		.amdhsa_user_sgpr_count 2
		.amdhsa_user_sgpr_dispatch_ptr 0
		.amdhsa_user_sgpr_queue_ptr 0
		.amdhsa_user_sgpr_kernarg_segment_ptr 1
		.amdhsa_user_sgpr_dispatch_id 0
		.amdhsa_user_sgpr_kernarg_preload_length 0
		.amdhsa_user_sgpr_kernarg_preload_offset 0
		.amdhsa_user_sgpr_private_segment_size 0
		.amdhsa_wavefront_size32 1
		.amdhsa_uses_dynamic_stack 0
		.amdhsa_enable_private_segment 0
		.amdhsa_system_sgpr_workgroup_id_x 1
		.amdhsa_system_sgpr_workgroup_id_y 0
		.amdhsa_system_sgpr_workgroup_id_z 0
		.amdhsa_system_sgpr_workgroup_info 0
		.amdhsa_system_vgpr_workitem_id 0
		.amdhsa_next_free_vgpr 25
		.amdhsa_next_free_sgpr 42
		.amdhsa_named_barrier_count 0
		.amdhsa_reserve_vcc 1
		.amdhsa_float_round_mode_32 0
		.amdhsa_float_round_mode_16_64 0
		.amdhsa_float_denorm_mode_32 3
		.amdhsa_float_denorm_mode_16_64 3
		.amdhsa_fp16_overflow 0
		.amdhsa_memory_ordered 1
		.amdhsa_forward_progress 1
		.amdhsa_inst_pref_size 28
		.amdhsa_round_robin_scheduling 0
		.amdhsa_exception_fp_ieee_invalid_op 0
		.amdhsa_exception_fp_denorm_src 0
		.amdhsa_exception_fp_ieee_div_zero 0
		.amdhsa_exception_fp_ieee_overflow 0
		.amdhsa_exception_fp_ieee_underflow 0
		.amdhsa_exception_fp_ieee_inexact 0
		.amdhsa_exception_int_div_zero 0
	.end_amdhsa_kernel
	.section	.text._ZN9rocsparseL12csrilu0_hashILj256ELj64ELj8E21rocsparse_complex_numIfEEEviPKiS4_PT2_S4_PiS4_S7_S7_d21rocsparse_index_base_imNS_24const_host_device_scalarIfEENS9_IdEENS9_IS5_EEb,"axG",@progbits,_ZN9rocsparseL12csrilu0_hashILj256ELj64ELj8E21rocsparse_complex_numIfEEEviPKiS4_PT2_S4_PiS4_S7_S7_d21rocsparse_index_base_imNS_24const_host_device_scalarIfEENS9_IdEENS9_IS5_EEb,comdat
.Lfunc_end36:
	.size	_ZN9rocsparseL12csrilu0_hashILj256ELj64ELj8E21rocsparse_complex_numIfEEEviPKiS4_PT2_S4_PiS4_S7_S7_d21rocsparse_index_base_imNS_24const_host_device_scalarIfEENS9_IdEENS9_IS5_EEb, .Lfunc_end36-_ZN9rocsparseL12csrilu0_hashILj256ELj64ELj8E21rocsparse_complex_numIfEEEviPKiS4_PT2_S4_PiS4_S7_S7_d21rocsparse_index_base_imNS_24const_host_device_scalarIfEENS9_IdEENS9_IS5_EEb
                                        ; -- End function
	.set _ZN9rocsparseL12csrilu0_hashILj256ELj64ELj8E21rocsparse_complex_numIfEEEviPKiS4_PT2_S4_PiS4_S7_S7_d21rocsparse_index_base_imNS_24const_host_device_scalarIfEENS9_IdEENS9_IS5_EEb.num_vgpr, 25
	.set _ZN9rocsparseL12csrilu0_hashILj256ELj64ELj8E21rocsparse_complex_numIfEEEviPKiS4_PT2_S4_PiS4_S7_S7_d21rocsparse_index_base_imNS_24const_host_device_scalarIfEENS9_IdEENS9_IS5_EEb.num_agpr, 0
	.set _ZN9rocsparseL12csrilu0_hashILj256ELj64ELj8E21rocsparse_complex_numIfEEEviPKiS4_PT2_S4_PiS4_S7_S7_d21rocsparse_index_base_imNS_24const_host_device_scalarIfEENS9_IdEENS9_IS5_EEb.numbered_sgpr, 42
	.set _ZN9rocsparseL12csrilu0_hashILj256ELj64ELj8E21rocsparse_complex_numIfEEEviPKiS4_PT2_S4_PiS4_S7_S7_d21rocsparse_index_base_imNS_24const_host_device_scalarIfEENS9_IdEENS9_IS5_EEb.num_named_barrier, 0
	.set _ZN9rocsparseL12csrilu0_hashILj256ELj64ELj8E21rocsparse_complex_numIfEEEviPKiS4_PT2_S4_PiS4_S7_S7_d21rocsparse_index_base_imNS_24const_host_device_scalarIfEENS9_IdEENS9_IS5_EEb.private_seg_size, 0
	.set _ZN9rocsparseL12csrilu0_hashILj256ELj64ELj8E21rocsparse_complex_numIfEEEviPKiS4_PT2_S4_PiS4_S7_S7_d21rocsparse_index_base_imNS_24const_host_device_scalarIfEENS9_IdEENS9_IS5_EEb.uses_vcc, 1
	.set _ZN9rocsparseL12csrilu0_hashILj256ELj64ELj8E21rocsparse_complex_numIfEEEviPKiS4_PT2_S4_PiS4_S7_S7_d21rocsparse_index_base_imNS_24const_host_device_scalarIfEENS9_IdEENS9_IS5_EEb.uses_flat_scratch, 0
	.set _ZN9rocsparseL12csrilu0_hashILj256ELj64ELj8E21rocsparse_complex_numIfEEEviPKiS4_PT2_S4_PiS4_S7_S7_d21rocsparse_index_base_imNS_24const_host_device_scalarIfEENS9_IdEENS9_IS5_EEb.has_dyn_sized_stack, 0
	.set _ZN9rocsparseL12csrilu0_hashILj256ELj64ELj8E21rocsparse_complex_numIfEEEviPKiS4_PT2_S4_PiS4_S7_S7_d21rocsparse_index_base_imNS_24const_host_device_scalarIfEENS9_IdEENS9_IS5_EEb.has_recursion, 0
	.set _ZN9rocsparseL12csrilu0_hashILj256ELj64ELj8E21rocsparse_complex_numIfEEEviPKiS4_PT2_S4_PiS4_S7_S7_d21rocsparse_index_base_imNS_24const_host_device_scalarIfEENS9_IdEENS9_IS5_EEb.has_indirect_call, 0
	.section	.AMDGPU.csdata,"",@progbits
; Kernel info:
; codeLenInByte = 3536
; TotalNumSgprs: 44
; NumVgprs: 25
; ScratchSize: 0
; MemoryBound: 0
; FloatMode: 240
; IeeeMode: 1
; LDSByteSize: 16384 bytes/workgroup (compile time only)
; SGPRBlocks: 0
; VGPRBlocks: 1
; NumSGPRsForWavesPerEU: 44
; NumVGPRsForWavesPerEU: 25
; NamedBarCnt: 0
; Occupancy: 16
; WaveLimiterHint : 1
; COMPUTE_PGM_RSRC2:SCRATCH_EN: 0
; COMPUTE_PGM_RSRC2:USER_SGPR: 2
; COMPUTE_PGM_RSRC2:TRAP_HANDLER: 0
; COMPUTE_PGM_RSRC2:TGID_X_EN: 1
; COMPUTE_PGM_RSRC2:TGID_Y_EN: 0
; COMPUTE_PGM_RSRC2:TGID_Z_EN: 0
; COMPUTE_PGM_RSRC2:TIDIG_COMP_CNT: 0
	.section	.text._ZN9rocsparseL12csrilu0_hashILj256ELj64ELj16E21rocsparse_complex_numIfEEEviPKiS4_PT2_S4_PiS4_S7_S7_d21rocsparse_index_base_imNS_24const_host_device_scalarIfEENS9_IdEENS9_IS5_EEb,"axG",@progbits,_ZN9rocsparseL12csrilu0_hashILj256ELj64ELj16E21rocsparse_complex_numIfEEEviPKiS4_PT2_S4_PiS4_S7_S7_d21rocsparse_index_base_imNS_24const_host_device_scalarIfEENS9_IdEENS9_IS5_EEb,comdat
	.globl	_ZN9rocsparseL12csrilu0_hashILj256ELj64ELj16E21rocsparse_complex_numIfEEEviPKiS4_PT2_S4_PiS4_S7_S7_d21rocsparse_index_base_imNS_24const_host_device_scalarIfEENS9_IdEENS9_IS5_EEb ; -- Begin function _ZN9rocsparseL12csrilu0_hashILj256ELj64ELj16E21rocsparse_complex_numIfEEEviPKiS4_PT2_S4_PiS4_S7_S7_d21rocsparse_index_base_imNS_24const_host_device_scalarIfEENS9_IdEENS9_IS5_EEb
	.p2align	8
	.type	_ZN9rocsparseL12csrilu0_hashILj256ELj64ELj16E21rocsparse_complex_numIfEEEviPKiS4_PT2_S4_PiS4_S7_S7_d21rocsparse_index_base_imNS_24const_host_device_scalarIfEENS9_IdEENS9_IS5_EEb,@function
_ZN9rocsparseL12csrilu0_hashILj256ELj64ELj16E21rocsparse_complex_numIfEEEviPKiS4_PT2_S4_PiS4_S7_S7_d21rocsparse_index_base_imNS_24const_host_device_scalarIfEENS9_IdEENS9_IS5_EEb: ; @_ZN9rocsparseL12csrilu0_hashILj256ELj64ELj16E21rocsparse_complex_numIfEEEviPKiS4_PT2_S4_PiS4_S7_S7_d21rocsparse_index_base_imNS_24const_host_device_scalarIfEENS9_IdEENS9_IS5_EEb
; %bb.0:
	s_clause 0x2
	s_load_b32 s2, s[0:1], 0x78
	s_load_b64 s[28:29], s[0:1], 0x50
	s_load_b256 s[20:27], s[0:1], 0x58
	s_wait_kmcnt 0x0
	s_bitcmp1_b32 s2, 0
	s_cselect_b32 s4, -1, 0
	s_cmp_eq_u32 s29, 0
	s_cselect_b32 s2, -1, 0
	s_cmp_lg_u32 s29, 0
	s_cselect_b32 s5, -1, 0
	s_or_b32 s7, s2, s4
	s_delay_alu instid0(SALU_CYCLE_1)
	s_xor_b32 s6, s7, -1
	s_and_b32 s2, s2, exec_lo
	s_cselect_b32 s3, 0, s25
	s_cselect_b32 s2, 0, s24
	;; [unrolled: 1-line block ×3, first 2 shown]
	s_and_b32 vcc_lo, exec_lo, s7
	s_cbranch_vccnz .LBB37_2
; %bb.1:
	s_load_b32 s29, s[22:23], 0x0
	s_mov_b64 s[2:3], s[24:25]
.LBB37_2:
	s_delay_alu instid0(SALU_CYCLE_1)
	v_mov_b64_e32 v[4:5], s[2:3]
	s_and_not1_b32 vcc_lo, exec_lo, s6
	s_cbranch_vccnz .LBB37_4
; %bb.3:
	v_mov_b32_e32 v1, 0
	flat_load_b64 v[4:5], v1, s[24:25]
.LBB37_4:
	v_cndmask_b32_e64 v15, 0, 1, s5
	s_mov_b32 s3, 0
	s_and_not1_b32 vcc_lo, exec_lo, s5
	s_wait_xcnt 0x0
	s_mov_b32 s22, 0
	s_cbranch_vccnz .LBB37_10
; %bb.5:
	s_xor_b32 s2, s4, -1
	s_mov_b32 s3, s26
	v_cndmask_b32_e64 v1, 0, 1, s2
	s_and_not1_b32 vcc_lo, exec_lo, s2
	s_cbranch_vccnz .LBB37_7
; %bb.6:
	s_load_b32 s3, s[26:27], 0x0
.LBB37_7:
	s_delay_alu instid0(VALU_DEP_1)
	v_cmp_ne_u32_e32 vcc_lo, 1, v1
	s_cbranch_vccnz .LBB37_9
; %bb.8:
	s_wait_xcnt 0x0
	s_load_b32 s27, s[26:27], 0x4
.LBB37_9:
	s_wait_kmcnt 0x0
	s_mov_b32 s22, s27
.LBB37_10:
	v_dual_lshrrev_b32 v1, 6, v0 :: v_dual_bitop2_b32 v14, 63, v0 bitop3:0x40
	s_mov_b32 s2, 0
	s_delay_alu instid0(VALU_DEP_1) | instskip(SKIP_1) | instid1(VALU_DEP_2)
	v_dual_lshlrev_b32 v3, 12, v1 :: v_dual_lshlrev_b32 v6, 2, v14
	v_or_b32_e32 v2, 0xffffffc0, v14
	v_or3_b32 v3, v3, v6, 0x4000
	v_mov_b32_e32 v6, -1
.LBB37_11:                              ; =>This Inner Loop Header: Depth=1
	s_delay_alu instid0(VALU_DEP_3) | instskip(SKIP_4) | instid1(SALU_CYCLE_1)
	v_add_nc_u32_e32 v2, 64, v2
	ds_store_b32 v3, v6
	v_add_nc_u32_e32 v3, 0x100, v3
	v_cmp_lt_u32_e32 vcc_lo, 0x3bf, v2
	s_or_b32 s2, vcc_lo, s2
	s_and_not1_b32 exec_lo, exec_lo, s2
	s_cbranch_execnz .LBB37_11
; %bb.12:
	s_or_b32 exec_lo, exec_lo, s2
	s_load_b32 s2, s[0:1], 0x0
	s_bfe_u32 s4, ttmp6, 0x4000c
	s_and_b32 s5, ttmp6, 15
	s_add_co_i32 s4, s4, 1
	s_getreg_b32 s6, hwreg(HW_REG_IB_STS2, 6, 4)
	s_mul_i32 s4, ttmp9, s4
	s_wait_loadcnt_dscnt 0x0
	s_add_co_i32 s5, s5, s4
	s_cmp_eq_u32 s6, 0
	s_cselect_b32 s4, ttmp9, s5
	s_delay_alu instid0(SALU_CYCLE_1) | instskip(NEXT) | instid1(SALU_CYCLE_1)
	s_lshl_b32 s4, s4, 2
	v_and_or_b32 v1, 0x3fffffc, s4, v1
	s_wait_kmcnt 0x0
	s_delay_alu instid0(VALU_DEP_1)
	v_cmp_gt_i32_e32 vcc_lo, s2, v1
	s_and_saveexec_b32 s2, vcc_lo
	s_cbranch_execz .LBB37_90
; %bb.13:
	s_load_b512 s[4:19], s[0:1], 0x8
	s_mov_b32 s2, exec_lo
	s_wait_kmcnt 0x0
	global_load_b32 v2, v1, s[14:15] scale_offset
	s_wait_xcnt 0x0
	v_lshlrev_b32_e32 v1, 6, v0
	s_delay_alu instid0(VALU_DEP_1) | instskip(NEXT) | instid1(VALU_DEP_1)
	v_and_b32_e32 v7, 0x3000, v1
	v_or_b32_e32 v16, 0x4000, v7
	s_wait_loadcnt 0x0
	v_ashrrev_i32_e32 v3, 31, v2
	s_delay_alu instid0(VALU_DEP_1)
	v_lshl_add_u64 v[8:9], v[2:3], 2, s[4:5]
	global_load_b64 v[10:11], v[8:9], off
	global_load_b32 v6, v2, s[10:11] scale_offset
	s_wait_loadcnt 0x1
	v_subrev_nc_u32_e32 v0, s28, v10
	v_subrev_nc_u32_e32 v1, s28, v11
	s_delay_alu instid0(VALU_DEP_2) | instskip(SKIP_1) | instid1(VALU_DEP_1)
	v_add_nc_u32_e32 v8, v0, v14
	s_wait_xcnt 0x0
	v_cmpx_lt_i32_e64 v8, v1
	s_cbranch_execz .LBB37_36
; %bb.14:
	v_mov_b32_e32 v9, -1
	s_mov_b32 s14, 0
	s_branch .LBB37_16
.LBB37_15:                              ;   in Loop: Header=BB37_16 Depth=1
	s_or_b32 exec_lo, exec_lo, s15
	v_add_nc_u32_e32 v8, 64, v8
	s_delay_alu instid0(VALU_DEP_1) | instskip(SKIP_1) | instid1(SALU_CYCLE_1)
	v_cmp_ge_i32_e32 vcc_lo, v8, v1
	s_or_b32 s14, vcc_lo, s14
	s_and_not1_b32 exec_lo, exec_lo, s14
	s_cbranch_execz .LBB37_36
.LBB37_16:                              ; =>This Loop Header: Depth=1
                                        ;     Child Loop BB37_25 Depth 2
	global_load_b32 v10, v8, s[6:7] scale_offset
	v_mov_b32_e32 v11, 0x400
	s_mov_b32 s15, 0
                                        ; implicit-def: $sgpr23
                                        ; implicit-def: $sgpr24
                                        ; implicit-def: $sgpr25
	s_wait_loadcnt 0x0
	v_mul_lo_u32 v13, 0x67, v10
	s_branch .LBB37_25
.LBB37_17:                              ;   in Loop: Header=BB37_25 Depth=2
	s_or_b32 exec_lo, exec_lo, s38
	s_delay_alu instid0(SALU_CYCLE_1)
	s_or_not1_b32 s36, s36, exec_lo
	s_or_not1_b32 s37, s37, exec_lo
.LBB37_18:                              ;   in Loop: Header=BB37_25 Depth=2
	s_or_b32 exec_lo, exec_lo, s35
	s_delay_alu instid0(SALU_CYCLE_1)
	s_and_b32 s36, s36, exec_lo
	s_or_not1_b32 s35, s37, exec_lo
.LBB37_19:                              ;   in Loop: Header=BB37_25 Depth=2
	s_or_b32 exec_lo, exec_lo, s34
	s_delay_alu instid0(SALU_CYCLE_1)
	s_or_not1_b32 s34, s36, exec_lo
	s_or_not1_b32 s35, s35, exec_lo
.LBB37_20:                              ;   in Loop: Header=BB37_25 Depth=2
	s_or_b32 exec_lo, exec_lo, s33
	s_delay_alu instid0(SALU_CYCLE_1)
	s_and_b32 s34, s34, exec_lo
	s_or_not1_b32 s33, s35, exec_lo
.LBB37_21:                              ;   in Loop: Header=BB37_25 Depth=2
	s_or_b32 exec_lo, exec_lo, s31
	s_delay_alu instid0(SALU_CYCLE_1)
	s_or_not1_b32 s31, s34, exec_lo
	s_or_not1_b32 s33, s33, exec_lo
.LBB37_22:                              ;   in Loop: Header=BB37_25 Depth=2
	s_or_b32 exec_lo, exec_lo, s30
	s_delay_alu instid0(SALU_CYCLE_1)
	s_and_b32 s31, s31, exec_lo
	s_or_not1_b32 s30, s33, exec_lo
.LBB37_23:                              ;   in Loop: Header=BB37_25 Depth=2
	s_or_b32 exec_lo, exec_lo, s27
	s_delay_alu instid0(SALU_CYCLE_1)
	s_and_not1_b32 s25, s25, exec_lo
	s_and_b32 s27, s31, exec_lo
	s_and_not1_b32 s24, s24, exec_lo
	s_and_b32 s30, s30, exec_lo
	s_or_b32 s25, s25, s27
	s_or_b32 s24, s24, s30
.LBB37_24:                              ;   in Loop: Header=BB37_25 Depth=2
	s_or_b32 exec_lo, exec_lo, s26
	s_delay_alu instid0(SALU_CYCLE_1) | instskip(NEXT) | instid1(SALU_CYCLE_1)
	s_and_b32 s26, exec_lo, s24
	s_or_b32 s15, s26, s15
	s_and_not1_b32 s23, s23, exec_lo
	s_and_b32 s26, s25, exec_lo
	s_delay_alu instid0(SALU_CYCLE_1)
	s_or_b32 s23, s23, s26
	s_and_not1_b32 exec_lo, exec_lo, s15
	s_cbranch_execz .LBB37_34
.LBB37_25:                              ;   Parent Loop BB37_16 Depth=1
                                        ; =>  This Inner Loop Header: Depth=2
	s_delay_alu instid0(VALU_DEP_1) | instskip(SKIP_3) | instid1(VALU_DEP_1)
	v_and_b32_e32 v12, 0x3ff, v13
	s_or_b32 s25, s25, exec_lo
	s_or_b32 s24, s24, exec_lo
	s_mov_b32 s26, exec_lo
	v_lshl_add_u32 v17, v12, 2, v16
	ds_load_b32 v18, v17
	s_wait_dscnt 0x0
	s_wait_xcnt 0x0
	v_cmpx_ne_u32_e64 v18, v10
	s_cbranch_execz .LBB37_24
; %bb.26:                               ;   in Loop: Header=BB37_25 Depth=2
	ds_cmpstore_rtn_b32 v17, v17, v10, v9
	s_mov_b32 s30, -1
	s_mov_b32 s31, 0
	s_mov_b32 s27, exec_lo
	s_wait_dscnt 0x0
	v_cmpx_ne_u32_e32 -1, v17
	s_cbranch_execz .LBB37_23
; %bb.27:                               ;   in Loop: Header=BB37_25 Depth=2
	v_add_nc_u32_e32 v12, 1, v13
	s_mov_b32 s33, -1
	s_mov_b32 s31, -1
	s_mov_b32 s30, exec_lo
	s_delay_alu instid0(VALU_DEP_1) | instskip(NEXT) | instid1(VALU_DEP_1)
	v_and_b32_e32 v12, 0x3ff, v12
	v_lshl_add_u32 v17, v12, 2, v16
	ds_load_b32 v18, v17
	s_wait_dscnt 0x0
	v_cmpx_ne_u32_e64 v18, v10
	s_cbranch_execz .LBB37_22
; %bb.28:                               ;   in Loop: Header=BB37_25 Depth=2
	ds_cmpstore_rtn_b32 v17, v17, v10, v9
	s_mov_b32 s34, 0
	s_mov_b32 s31, exec_lo
	s_wait_dscnt 0x0
	v_cmpx_ne_u32_e32 -1, v17
	s_cbranch_execz .LBB37_21
; %bb.29:                               ;   in Loop: Header=BB37_25 Depth=2
	v_add_nc_u32_e32 v12, 2, v13
	s_mov_b32 s35, -1
	s_mov_b32 s34, -1
	s_mov_b32 s33, exec_lo
	s_delay_alu instid0(VALU_DEP_1) | instskip(NEXT) | instid1(VALU_DEP_1)
	v_and_b32_e32 v12, 0x3ff, v12
	v_lshl_add_u32 v17, v12, 2, v16
	ds_load_b32 v18, v17
	s_wait_dscnt 0x0
	v_cmpx_ne_u32_e64 v18, v10
	s_cbranch_execz .LBB37_20
; %bb.30:                               ;   in Loop: Header=BB37_25 Depth=2
	ds_cmpstore_rtn_b32 v17, v17, v10, v9
	s_mov_b32 s36, 0
	s_mov_b32 s34, exec_lo
	s_wait_dscnt 0x0
	v_cmpx_ne_u32_e32 -1, v17
	s_cbranch_execz .LBB37_19
; %bb.31:                               ;   in Loop: Header=BB37_25 Depth=2
	v_add_nc_u32_e32 v12, 3, v13
	s_mov_b32 s37, -1
	s_mov_b32 s36, -1
	s_delay_alu instid0(VALU_DEP_1) | instskip(NEXT) | instid1(VALU_DEP_1)
	v_and_b32_e32 v12, 0x3ff, v12
	v_lshl_add_u32 v17, v12, 2, v16
	ds_load_b32 v13, v17
	s_wait_dscnt 0x0
	v_cmp_ne_u32_e32 vcc_lo, v13, v10
                                        ; implicit-def: $vgpr13
	s_and_saveexec_b32 s35, vcc_lo
	s_cbranch_execz .LBB37_18
; %bb.32:                               ;   in Loop: Header=BB37_25 Depth=2
	ds_cmpstore_rtn_b32 v13, v17, v10, v9
	s_mov_b32 s36, 0
	s_wait_dscnt 0x0
	v_cmp_ne_u32_e32 vcc_lo, -1, v13
                                        ; implicit-def: $vgpr13
	s_and_saveexec_b32 s38, vcc_lo
	s_cbranch_execz .LBB37_17
; %bb.33:                               ;   in Loop: Header=BB37_25 Depth=2
	v_dual_add_nc_u32 v11, -4, v11 :: v_dual_add_nc_u32 v13, 1, v12
	s_mov_b32 s36, exec_lo
	s_delay_alu instid0(VALU_DEP_1)
	v_cmp_eq_u32_e32 vcc_lo, 0, v11
	s_or_not1_b32 s37, vcc_lo, exec_lo
	s_branch .LBB37_17
.LBB37_34:                              ;   in Loop: Header=BB37_16 Depth=1
	s_or_b32 exec_lo, exec_lo, s15
	s_xor_b32 s15, s23, -1
	s_delay_alu instid0(SALU_CYCLE_1) | instskip(NEXT) | instid1(SALU_CYCLE_1)
	s_and_saveexec_b32 s23, s15
	s_xor_b32 s15, exec_lo, s23
	s_cbranch_execz .LBB37_15
; %bb.35:                               ;   in Loop: Header=BB37_16 Depth=1
	v_lshl_add_u32 v10, v12, 2, v7
	ds_store_b32 v10, v8
	s_branch .LBB37_15
.LBB37_36:
	s_or_b32 exec_lo, exec_lo, s2
	s_delay_alu instid0(SALU_CYCLE_1)
	s_mov_b32 s14, exec_lo
	s_wait_loadcnt_dscnt 0x0
	v_cmpx_lt_i32_e64 v0, v6
	s_cbranch_execz .LBB37_66
; %bb.37:
	v_add_nc_u32_e32 v17, 1, v14
	s_mov_b32 s15, 0
	s_branch .LBB37_40
.LBB37_38:                              ;   in Loop: Header=BB37_40 Depth=1
	s_or_b32 exec_lo, exec_lo, s23
	v_add_nc_u32_e32 v0, 1, v0
	s_delay_alu instid0(VALU_DEP_1)
	v_cmp_ge_i32_e32 vcc_lo, v0, v6
	s_or_not1_b32 s23, vcc_lo, exec_lo
.LBB37_39:                              ;   in Loop: Header=BB37_40 Depth=1
	s_or_b32 exec_lo, exec_lo, s2
	s_delay_alu instid0(SALU_CYCLE_1) | instskip(NEXT) | instid1(SALU_CYCLE_1)
	s_and_b32 s2, exec_lo, s23
	s_or_b32 s15, s2, s15
	s_delay_alu instid0(SALU_CYCLE_1)
	s_and_not1_b32 exec_lo, exec_lo, s15
	s_cbranch_execz .LBB37_66
.LBB37_40:                              ; =>This Loop Header: Depth=1
                                        ;     Child Loop BB37_41 Depth 2
                                        ;     Child Loop BB37_46 Depth 2
                                        ;       Child Loop BB37_55 Depth 3
	s_clause 0x1
	global_load_b32 v1, v0, s[6:7] scale_offset
	global_load_b64 v[8:9], v0, s[8:9] scale_offset
	s_mov_b32 s2, 0
	s_wait_loadcnt 0x1
	v_subrev_nc_u32_e32 v10, s28, v1
	v_ashrrev_i32_e32 v1, 31, v0
	s_clause 0x1
	global_load_b32 v19, v10, s[4:5] offset:4 scale_offset
	global_load_b32 v18, v10, s[10:11] scale_offset
	v_ashrrev_i32_e32 v11, 31, v10
	v_lshl_add_u64 v[12:13], v[0:1], 3, s[8:9]
	s_wait_xcnt 0x0
	s_delay_alu instid0(VALU_DEP_2)
	v_lshl_add_u64 v[10:11], v[10:11], 2, s[12:13]
.LBB37_41:                              ;   Parent Loop BB37_40 Depth=1
                                        ; =>  This Inner Loop Header: Depth=2
	global_load_b32 v1, v[10:11], off scope:SCOPE_DEV
	s_wait_loadcnt 0x0
	v_cmp_ne_u32_e32 vcc_lo, 0, v1
	s_or_b32 s2, vcc_lo, s2
	s_wait_xcnt 0x0
	s_and_not1_b32 exec_lo, exec_lo, s2
	s_cbranch_execnz .LBB37_41
; %bb.42:                               ;   in Loop: Header=BB37_40 Depth=1
	s_or_b32 exec_lo, exec_lo, s2
	v_subrev_nc_u32_e32 v1, s28, v19
	v_cmp_eq_u32_e32 vcc_lo, -1, v18
	global_inv scope:SCOPE_DEV
	s_mov_b32 s23, -1
	v_add_nc_u32_e32 v10, -1, v1
	s_delay_alu instid0(VALU_DEP_1)
	v_cndmask_b32_e32 v18, v18, v10, vcc_lo
	global_load_b64 v[10:11], v18, s[8:9] scale_offset
	s_wait_loadcnt 0x0
	v_cmp_neq_f32_e32 vcc_lo, 0, v10
	v_cmp_neq_f32_e64 s2, 0, v11
	s_or_b32 s24, vcc_lo, s2
	s_wait_xcnt 0x0
	s_and_saveexec_b32 s2, s24
	s_cbranch_execz .LBB37_39
; %bb.43:                               ;   in Loop: Header=BB37_40 Depth=1
	v_mul_f32_e32 v19, v11, v11
	s_mov_b32 s23, exec_lo
	s_delay_alu instid0(VALU_DEP_1) | instskip(NEXT) | instid1(VALU_DEP_1)
	v_fmac_f32_e32 v19, v10, v10
	v_div_scale_f32 v20, null, v19, v19, 1.0
	v_div_scale_f32 v23, vcc_lo, 1.0, v19, 1.0
	s_delay_alu instid0(VALU_DEP_2) | instskip(SKIP_1) | instid1(TRANS32_DEP_1)
	v_rcp_f32_e32 v21, v20
	v_nop
	v_fma_f32 v22, -v20, v21, 1.0
	s_delay_alu instid0(VALU_DEP_1) | instskip(NEXT) | instid1(VALU_DEP_1)
	v_fmac_f32_e32 v21, v22, v21
	v_mul_f32_e32 v22, v23, v21
	s_delay_alu instid0(VALU_DEP_1) | instskip(NEXT) | instid1(VALU_DEP_1)
	v_fma_f32 v24, -v20, v22, v23
	v_fmac_f32_e32 v22, v24, v21
	s_delay_alu instid0(VALU_DEP_1) | instskip(NEXT) | instid1(VALU_DEP_1)
	v_dual_fma_f32 v23, -v20, v22, v23 :: v_dual_mov_b32 v20, v11
	v_div_fmas_f32 v11, v23, v21, v22
	s_delay_alu instid0(VALU_DEP_2) | instskip(NEXT) | instid1(VALU_DEP_2)
	v_pk_mul_f32 v[20:21], v[8:9], v[20:21] op_sel:[1,0] op_sel_hi:[0,0] neg_hi:[1,0]
	v_div_fixup_f32 v22, v11, v19, 1.0
	s_delay_alu instid0(VALU_DEP_2) | instskip(SKIP_1) | instid1(VALU_DEP_2)
	v_pk_fma_f32 v[10:11], v[8:9], v[10:11], v[20:21] op_sel_hi:[1,0,1]
	v_add_nc_u32_e32 v8, v17, v18
	v_pk_mul_f32 v[10:11], v[10:11], v[22:23] op_sel_hi:[1,0]
	global_store_b64 v[12:13], v[10:11], off
	s_wait_xcnt 0x0
	v_cmpx_lt_i32_e64 v8, v1
	s_cbranch_execz .LBB37_38
; %bb.44:                               ;   in Loop: Header=BB37_40 Depth=1
	v_xor_b32_e32 v13, 0x80000000, v10
	v_mov_b32_e32 v12, v11
	s_mov_b32 s24, 0
	s_branch .LBB37_46
.LBB37_45:                              ;   in Loop: Header=BB37_46 Depth=2
	s_wait_xcnt 0x0
	s_or_b32 exec_lo, exec_lo, s25
	v_add_nc_u32_e32 v8, 64, v8
	s_delay_alu instid0(VALU_DEP_1) | instskip(SKIP_1) | instid1(SALU_CYCLE_1)
	v_cmp_ge_i32_e32 vcc_lo, v8, v1
	s_or_b32 s24, vcc_lo, s24
	s_and_not1_b32 exec_lo, exec_lo, s24
	s_cbranch_execz .LBB37_38
.LBB37_46:                              ;   Parent Loop BB37_40 Depth=1
                                        ; =>  This Loop Header: Depth=2
                                        ;       Child Loop BB37_55 Depth 3
	global_load_b32 v18, v8, s[6:7] scale_offset
	v_ashrrev_i32_e32 v9, 31, v8
	v_mov_b32_e32 v19, 0x400
	s_mov_b32 s25, 0
                                        ; implicit-def: $sgpr26
                                        ; implicit-def: $sgpr27
                                        ; implicit-def: $sgpr30
	s_wait_loadcnt 0x0
	v_mul_lo_u32 v21, 0x67, v18
	s_branch .LBB37_55
.LBB37_47:                              ;   in Loop: Header=BB37_55 Depth=3
	s_or_b32 exec_lo, exec_lo, s41
	s_delay_alu instid0(SALU_CYCLE_1)
	s_or_not1_b32 s39, s39, exec_lo
	s_or_not1_b32 s40, s40, exec_lo
.LBB37_48:                              ;   in Loop: Header=BB37_55 Depth=3
	s_or_b32 exec_lo, exec_lo, s38
	s_delay_alu instid0(SALU_CYCLE_1)
	s_and_b32 s39, s39, exec_lo
	s_or_not1_b32 s38, s40, exec_lo
.LBB37_49:                              ;   in Loop: Header=BB37_55 Depth=3
	s_or_b32 exec_lo, exec_lo, s37
	s_delay_alu instid0(SALU_CYCLE_1)
	s_or_not1_b32 s37, s39, exec_lo
	s_or_not1_b32 s38, s38, exec_lo
.LBB37_50:                              ;   in Loop: Header=BB37_55 Depth=3
	s_or_b32 exec_lo, exec_lo, s36
	s_delay_alu instid0(SALU_CYCLE_1)
	s_and_b32 s37, s37, exec_lo
	s_or_not1_b32 s36, s38, exec_lo
.LBB37_51:                              ;   in Loop: Header=BB37_55 Depth=3
	s_or_b32 exec_lo, exec_lo, s35
	s_delay_alu instid0(SALU_CYCLE_1)
	s_or_not1_b32 s35, s37, exec_lo
	s_or_not1_b32 s36, s36, exec_lo
.LBB37_52:                              ;   in Loop: Header=BB37_55 Depth=3
	s_or_b32 exec_lo, exec_lo, s34
	s_delay_alu instid0(SALU_CYCLE_1)
	s_and_b32 s35, s35, exec_lo
	s_or_not1_b32 s34, s36, exec_lo
.LBB37_53:                              ;   in Loop: Header=BB37_55 Depth=3
	s_or_b32 exec_lo, exec_lo, s33
	s_delay_alu instid0(SALU_CYCLE_1)
	s_and_not1_b32 s30, s30, exec_lo
	s_and_b32 s33, s35, exec_lo
	s_and_not1_b32 s27, s27, exec_lo
	s_and_b32 s34, s34, exec_lo
	s_or_b32 s30, s30, s33
	s_or_b32 s27, s27, s34
.LBB37_54:                              ;   in Loop: Header=BB37_55 Depth=3
	s_or_b32 exec_lo, exec_lo, s31
	s_delay_alu instid0(SALU_CYCLE_1) | instskip(NEXT) | instid1(SALU_CYCLE_1)
	s_and_b32 s31, exec_lo, s27
	s_or_b32 s25, s31, s25
	s_and_not1_b32 s26, s26, exec_lo
	s_and_b32 s31, s30, exec_lo
	s_delay_alu instid0(SALU_CYCLE_1)
	s_or_b32 s26, s26, s31
	s_and_not1_b32 exec_lo, exec_lo, s25
	s_cbranch_execz .LBB37_64
.LBB37_55:                              ;   Parent Loop BB37_40 Depth=1
                                        ;     Parent Loop BB37_46 Depth=2
                                        ; =>    This Inner Loop Header: Depth=3
	s_delay_alu instid0(VALU_DEP_1) | instskip(SKIP_3) | instid1(VALU_DEP_1)
	v_and_b32_e32 v20, 0x3ff, v21
	s_or_b32 s30, s30, exec_lo
	s_or_b32 s27, s27, exec_lo
	s_mov_b32 s31, exec_lo
	v_lshl_add_u32 v22, v20, 2, v16
	ds_load_b32 v22, v22
	s_wait_dscnt 0x0
	s_wait_xcnt 0x0
	v_cmpx_ne_u32_e32 -1, v22
	s_cbranch_execz .LBB37_54
; %bb.56:                               ;   in Loop: Header=BB37_55 Depth=3
	s_mov_b32 s34, -1
	s_mov_b32 s35, 0
	s_mov_b32 s33, exec_lo
	v_cmpx_ne_u32_e64 v22, v18
	s_cbranch_execz .LBB37_53
; %bb.57:                               ;   in Loop: Header=BB37_55 Depth=3
	v_add_nc_u32_e32 v20, 1, v21
	s_mov_b32 s36, -1
	s_mov_b32 s35, -1
	s_mov_b32 s34, exec_lo
	s_delay_alu instid0(VALU_DEP_1) | instskip(NEXT) | instid1(VALU_DEP_1)
	v_and_b32_e32 v20, 0x3ff, v20
	v_lshl_add_u32 v22, v20, 2, v16
	ds_load_b32 v22, v22
	s_wait_dscnt 0x0
	v_cmpx_ne_u32_e32 -1, v22
	s_cbranch_execz .LBB37_52
; %bb.58:                               ;   in Loop: Header=BB37_55 Depth=3
	s_mov_b32 s37, 0
	s_mov_b32 s35, exec_lo
	v_cmpx_ne_u32_e64 v22, v18
	s_cbranch_execz .LBB37_51
; %bb.59:                               ;   in Loop: Header=BB37_55 Depth=3
	v_add_nc_u32_e32 v20, 2, v21
	s_mov_b32 s38, -1
	s_mov_b32 s37, -1
	s_mov_b32 s36, exec_lo
	s_delay_alu instid0(VALU_DEP_1) | instskip(NEXT) | instid1(VALU_DEP_1)
	v_and_b32_e32 v20, 0x3ff, v20
	v_lshl_add_u32 v22, v20, 2, v16
	ds_load_b32 v22, v22
	s_wait_dscnt 0x0
	v_cmpx_ne_u32_e32 -1, v22
	s_cbranch_execz .LBB37_50
; %bb.60:                               ;   in Loop: Header=BB37_55 Depth=3
	s_mov_b32 s39, 0
	s_mov_b32 s37, exec_lo
	v_cmpx_ne_u32_e64 v22, v18
	s_cbranch_execz .LBB37_49
; %bb.61:                               ;   in Loop: Header=BB37_55 Depth=3
	v_add_nc_u32_e32 v20, 3, v21
	s_mov_b32 s40, -1
	s_mov_b32 s39, -1
	s_mov_b32 s38, exec_lo
	s_delay_alu instid0(VALU_DEP_1) | instskip(NEXT) | instid1(VALU_DEP_1)
	v_and_b32_e32 v20, 0x3ff, v20
	v_lshl_add_u32 v21, v20, 2, v16
	ds_load_b32 v22, v21
                                        ; implicit-def: $vgpr21
	s_wait_dscnt 0x0
	v_cmpx_ne_u32_e32 -1, v22
	s_cbranch_execz .LBB37_48
; %bb.62:                               ;   in Loop: Header=BB37_55 Depth=3
	s_mov_b32 s39, 0
	s_mov_b32 s41, exec_lo
                                        ; implicit-def: $vgpr21
	v_cmpx_ne_u32_e64 v22, v18
	s_cbranch_execz .LBB37_47
; %bb.63:                               ;   in Loop: Header=BB37_55 Depth=3
	v_dual_add_nc_u32 v19, -4, v19 :: v_dual_add_nc_u32 v21, 1, v20
	s_mov_b32 s39, exec_lo
	s_delay_alu instid0(VALU_DEP_1)
	v_cmp_eq_u32_e32 vcc_lo, 0, v19
	s_or_not1_b32 s40, vcc_lo, exec_lo
	s_branch .LBB37_47
.LBB37_64:                              ;   in Loop: Header=BB37_46 Depth=2
	s_or_b32 exec_lo, exec_lo, s25
	s_xor_b32 s25, s26, -1
	s_delay_alu instid0(SALU_CYCLE_1) | instskip(NEXT) | instid1(SALU_CYCLE_1)
	s_and_saveexec_b32 s26, s25
	s_xor_b32 s25, exec_lo, s26
	s_cbranch_execz .LBB37_45
; %bb.65:                               ;   in Loop: Header=BB37_46 Depth=2
	v_lshl_add_u32 v18, v20, 2, v7
	ds_load_b32 v24, v18
	v_lshl_add_u64 v[18:19], v[8:9], 3, s[8:9]
	global_load_b64 v[20:21], v[18:19], off
	s_wait_dscnt 0x0
	global_load_b64 v[22:23], v24, s[8:9] scale_offset
	s_wait_loadcnt 0x0
	s_wait_xcnt 0x1
	v_pk_fma_f32 v[18:19], v[10:11], v[20:21], v[22:23] op_sel_hi:[1,0,1] neg_lo:[1,0,0] neg_hi:[1,0,0]
	s_delay_alu instid0(VALU_DEP_1)
	v_pk_fma_f32 v[18:19], v[12:13], v[20:21], v[18:19] op_sel:[0,1,0]
	global_store_b64 v24, v[18:19], s[8:9] scale_offset
	s_branch .LBB37_45
.LBB37_66:
	s_or_b32 exec_lo, exec_lo, s14
	s_delay_alu instid0(SALU_CYCLE_1)
	s_mov_b32 s4, exec_lo
	s_wait_storecnt 0x0
	v_cmpx_lt_i32_e32 -1, v6
	s_cbranch_execz .LBB37_88
; %bb.67:
	global_load_b64 v[0:1], v6, s[8:9] scale_offset
	v_mov_b32_e32 v7, 0
                                        ; implicit-def: $vgpr10
	s_mov_b32 s2, exec_lo
	s_wait_loadcnt 0x0
	v_cmp_gt_f32_e32 vcc_lo, 0, v0
	v_cndmask_b32_e64 v8, v0, -v0, vcc_lo
	v_cmp_gt_f32_e32 vcc_lo, 0, v1
	v_cndmask_b32_e64 v9, v1, -v1, vcc_lo
	s_delay_alu instid0(VALU_DEP_1)
	v_cmpx_ngt_f32_e32 v8, v9
	s_xor_b32 s5, exec_lo, s2
	s_cbranch_execz .LBB37_71
; %bb.68:
	v_mov_b32_e32 v10, 0
	s_mov_b32 s6, exec_lo
	v_cmpx_neq_f32_e32 0, v1
	s_cbranch_execz .LBB37_70
; %bb.69:
	v_div_scale_f32 v10, null, v9, v9, v8
	v_div_scale_f32 v13, vcc_lo, v8, v9, v8
	s_delay_alu instid0(VALU_DEP_2) | instskip(SKIP_1) | instid1(TRANS32_DEP_1)
	v_rcp_f32_e32 v11, v10
	v_nop
	v_fma_f32 v12, -v10, v11, 1.0
	s_delay_alu instid0(VALU_DEP_1) | instskip(NEXT) | instid1(VALU_DEP_1)
	v_fmac_f32_e32 v11, v12, v11
	v_mul_f32_e32 v12, v13, v11
	s_delay_alu instid0(VALU_DEP_1) | instskip(NEXT) | instid1(VALU_DEP_1)
	v_fma_f32 v16, -v10, v12, v13
	v_fmac_f32_e32 v12, v16, v11
	s_delay_alu instid0(VALU_DEP_1) | instskip(NEXT) | instid1(VALU_DEP_1)
	v_fma_f32 v10, -v10, v12, v13
	v_div_fmas_f32 v10, v10, v11, v12
	s_delay_alu instid0(VALU_DEP_1) | instskip(NEXT) | instid1(VALU_DEP_1)
	v_div_fixup_f32 v8, v10, v9, v8
	v_fma_f32 v8, v8, v8, 1.0
	s_delay_alu instid0(VALU_DEP_1) | instskip(SKIP_1) | instid1(VALU_DEP_2)
	v_mul_f32_e32 v10, 0x4f800000, v8
	v_cmp_gt_f32_e32 vcc_lo, 0xf800000, v8
	v_cndmask_b32_e32 v8, v8, v10, vcc_lo
	s_delay_alu instid0(VALU_DEP_1) | instskip(SKIP_1) | instid1(TRANS32_DEP_1)
	v_sqrt_f32_e32 v10, v8
	v_nop
	v_dual_add_nc_u32 v11, -1, v10 :: v_dual_add_nc_u32 v12, 1, v10
	s_delay_alu instid0(VALU_DEP_1) | instskip(NEXT) | instid1(VALU_DEP_1)
	v_fma_f32 v13, -v11, v10, v8
	v_cmp_ge_f32_e64 s2, 0, v13
	s_delay_alu instid0(VALU_DEP_1) | instskip(NEXT) | instid1(VALU_DEP_1)
	v_dual_fma_f32 v16, -v12, v10, v8 :: v_dual_cndmask_b32 v10, v10, v11, s2
	v_cmp_lt_f32_e64 s2, 0, v16
	s_delay_alu instid0(VALU_DEP_1) | instskip(NEXT) | instid1(VALU_DEP_1)
	v_cndmask_b32_e64 v10, v10, v12, s2
	v_mul_f32_e32 v11, 0x37800000, v10
	s_delay_alu instid0(VALU_DEP_1) | instskip(SKIP_1) | instid1(VALU_DEP_2)
	v_cndmask_b32_e32 v10, v10, v11, vcc_lo
	v_cmp_class_f32_e64 vcc_lo, v8, 0x260
	v_cndmask_b32_e32 v8, v10, v8, vcc_lo
	s_delay_alu instid0(VALU_DEP_1)
	v_mul_f32_e32 v10, v9, v8
.LBB37_70:
	s_or_b32 exec_lo, exec_lo, s6
                                        ; implicit-def: $vgpr8
                                        ; implicit-def: $vgpr9
.LBB37_71:
	s_and_not1_saveexec_b32 s5, s5
	s_cbranch_execz .LBB37_73
; %bb.72:
	v_div_scale_f32 v10, null, v8, v8, v9
	v_div_scale_f32 v13, vcc_lo, v9, v8, v9
	s_delay_alu instid0(VALU_DEP_2) | instskip(SKIP_1) | instid1(TRANS32_DEP_1)
	v_rcp_f32_e32 v11, v10
	v_nop
	v_fma_f32 v12, -v10, v11, 1.0
	s_delay_alu instid0(VALU_DEP_1) | instskip(NEXT) | instid1(VALU_DEP_1)
	v_fmac_f32_e32 v11, v12, v11
	v_mul_f32_e32 v12, v13, v11
	s_delay_alu instid0(VALU_DEP_1) | instskip(NEXT) | instid1(VALU_DEP_1)
	v_fma_f32 v16, -v10, v12, v13
	v_fmac_f32_e32 v12, v16, v11
	s_delay_alu instid0(VALU_DEP_1) | instskip(NEXT) | instid1(VALU_DEP_1)
	v_fma_f32 v10, -v10, v12, v13
	v_div_fmas_f32 v10, v10, v11, v12
	s_delay_alu instid0(VALU_DEP_1) | instskip(NEXT) | instid1(VALU_DEP_1)
	v_div_fixup_f32 v9, v10, v8, v9
	v_fma_f32 v9, v9, v9, 1.0
	s_delay_alu instid0(VALU_DEP_1) | instskip(SKIP_1) | instid1(VALU_DEP_2)
	v_mul_f32_e32 v10, 0x4f800000, v9
	v_cmp_gt_f32_e32 vcc_lo, 0xf800000, v9
	v_cndmask_b32_e32 v9, v9, v10, vcc_lo
	s_delay_alu instid0(VALU_DEP_1) | instskip(SKIP_1) | instid1(TRANS32_DEP_1)
	v_sqrt_f32_e32 v10, v9
	v_nop
	v_dual_add_nc_u32 v11, -1, v10 :: v_dual_add_nc_u32 v12, 1, v10
	s_delay_alu instid0(VALU_DEP_1) | instskip(NEXT) | instid1(VALU_DEP_1)
	v_fma_f32 v13, -v11, v10, v9
	v_cmp_ge_f32_e64 s2, 0, v13
	s_delay_alu instid0(VALU_DEP_1) | instskip(NEXT) | instid1(VALU_DEP_1)
	v_dual_fma_f32 v16, -v12, v10, v9 :: v_dual_cndmask_b32 v10, v10, v11, s2
	v_cmp_lt_f32_e64 s2, 0, v16
	s_delay_alu instid0(VALU_DEP_1) | instskip(NEXT) | instid1(VALU_DEP_1)
	v_cndmask_b32_e64 v10, v10, v12, s2
	v_mul_f32_e32 v11, 0x37800000, v10
	s_delay_alu instid0(VALU_DEP_1) | instskip(SKIP_1) | instid1(VALU_DEP_2)
	v_cndmask_b32_e32 v10, v10, v11, vcc_lo
	v_cmp_class_f32_e64 vcc_lo, v9, 0x260
	v_cndmask_b32_e32 v9, v10, v9, vcc_lo
	s_delay_alu instid0(VALU_DEP_1)
	v_mul_f32_e32 v10, v8, v9
.LBB37_73:
	s_or_b32 exec_lo, exec_lo, s5
	s_delay_alu instid0(VALU_DEP_1)
	v_cvt_f64_f32_e32 v[8:9], v10
	v_cmp_ne_u32_e32 vcc_lo, 1, v15
	v_cmp_eq_u32_e64 s2, 0, v14
	s_mov_b32 s5, -1
	s_cbranch_vccnz .LBB37_77
; %bb.74:
	v_cvt_f64_f32_e32 v[10:11], s29
	s_cmp_eq_u64 s[20:21], 8
	s_cselect_b32 vcc_lo, -1, 0
	s_delay_alu instid0(VALU_DEP_1) | instskip(NEXT) | instid1(VALU_DEP_1)
	v_dual_cndmask_b32 v5, v11, v5 :: v_dual_cndmask_b32 v4, v10, v4
	v_cmp_ge_f64_e32 vcc_lo, v[4:5], v[8:9]
	s_and_b32 s6, s2, vcc_lo
	s_delay_alu instid0(SALU_CYCLE_1)
	s_and_saveexec_b32 s5, s6
	s_cbranch_execz .LBB37_76
; %bb.75:
	v_lshl_add_u64 v[4:5], v[6:7], 3, s[8:9]
	v_dual_mov_b32 v6, s3 :: v_dual_mov_b32 v7, s22
	global_store_b64 v[4:5], v[6:7], off
	global_wb scope:SCOPE_DEV
	s_wait_storecnt 0x0
	global_inv scope:SCOPE_DEV
.LBB37_76:
	s_wait_xcnt 0x0
	s_or_b32 exec_lo, exec_lo, s5
	s_mov_b32 s5, 0
.LBB37_77:
	s_delay_alu instid0(SALU_CYCLE_1)
	s_and_not1_b32 vcc_lo, exec_lo, s5
	s_cbranch_vccnz .LBB37_88
; %bb.78:
	s_load_b64 s[0:1], s[0:1], 0x48
	v_add_nc_u32_e32 v4, s28, v2
	s_wait_kmcnt 0x0
	v_cmp_ge_f64_e32 vcc_lo, s[0:1], v[8:9]
	s_and_b32 s1, s2, vcc_lo
	s_delay_alu instid0(SALU_CYCLE_1)
	s_and_saveexec_b32 s0, s1
	s_cbranch_execz .LBB37_83
; %bb.79:
	s_mov_b32 s3, exec_lo
	s_brev_b32 s1, -2
.LBB37_80:                              ; =>This Inner Loop Header: Depth=1
	s_ctz_i32_b32 s5, s3
	s_delay_alu instid0(SALU_CYCLE_1) | instskip(SKIP_1) | instid1(SALU_CYCLE_1)
	v_readlane_b32 s6, v4, s5
	s_lshl_b32 s5, 1, s5
	s_and_not1_b32 s3, s3, s5
	s_min_i32 s1, s1, s6
	s_cmp_lg_u32 s3, 0
	s_cbranch_scc1 .LBB37_80
; %bb.81:
	v_mbcnt_lo_u32_b32 v5, exec_lo, 0
	s_mov_b32 s3, exec_lo
	s_delay_alu instid0(VALU_DEP_1)
	v_cmpx_eq_u32_e32 0, v5
	s_xor_b32 s3, exec_lo, s3
	s_cbranch_execz .LBB37_83
; %bb.82:
	v_dual_mov_b32 v5, 0 :: v_dual_mov_b32 v6, s1
	global_atomic_min_i32 v5, v6, s[18:19] scope:SCOPE_DEV
.LBB37_83:
	s_wait_xcnt 0x0
	s_or_b32 exec_lo, exec_lo, s0
	v_cmp_eq_f32_e32 vcc_lo, 0, v0
	v_cmp_eq_f32_e64 s0, 0, v1
	s_and_b32 s0, vcc_lo, s0
	s_delay_alu instid0(SALU_CYCLE_1) | instskip(NEXT) | instid1(SALU_CYCLE_1)
	s_and_b32 s0, s2, s0
	s_and_b32 exec_lo, exec_lo, s0
	s_cbranch_execz .LBB37_88
; %bb.84:
	s_mov_b32 s1, exec_lo
	s_brev_b32 s0, -2
.LBB37_85:                              ; =>This Inner Loop Header: Depth=1
	s_ctz_i32_b32 s2, s1
	s_delay_alu instid0(SALU_CYCLE_1) | instskip(SKIP_1) | instid1(SALU_CYCLE_1)
	v_readlane_b32 s3, v4, s2
	s_lshl_b32 s2, 1, s2
	s_and_not1_b32 s1, s1, s2
	s_min_i32 s0, s0, s3
	s_cmp_lg_u32 s1, 0
	s_cbranch_scc1 .LBB37_85
; %bb.86:
	v_mbcnt_lo_u32_b32 v0, exec_lo, 0
	s_mov_b32 s1, exec_lo
	s_delay_alu instid0(VALU_DEP_1)
	v_cmpx_eq_u32_e32 0, v0
	s_xor_b32 s1, exec_lo, s1
	s_cbranch_execz .LBB37_88
; %bb.87:
	v_dual_mov_b32 v0, 0 :: v_dual_mov_b32 v1, s0
	global_atomic_min_i32 v0, v1, s[16:17] scope:SCOPE_DEV
.LBB37_88:
	s_wait_xcnt 0x0
	s_or_b32 exec_lo, exec_lo, s4
	v_cmp_eq_u32_e32 vcc_lo, 0, v14
	global_wb scope:SCOPE_DEV
	s_wait_loadcnt 0x0
	s_wait_storecnt 0x0
	global_inv scope:SCOPE_DEV
	s_and_b32 exec_lo, exec_lo, vcc_lo
	s_cbranch_execz .LBB37_90
; %bb.89:
	v_lshl_add_u64 v[0:1], v[2:3], 2, s[12:13]
	v_mov_b32_e32 v2, 1
	global_wb scope:SCOPE_DEV
	s_wait_loadcnt 0x0
	s_wait_storecnt 0x0
	global_store_b32 v[0:1], v2, off scope:SCOPE_DEV
.LBB37_90:
	s_endpgm
	.section	.rodata,"a",@progbits
	.p2align	6, 0x0
	.amdhsa_kernel _ZN9rocsparseL12csrilu0_hashILj256ELj64ELj16E21rocsparse_complex_numIfEEEviPKiS4_PT2_S4_PiS4_S7_S7_d21rocsparse_index_base_imNS_24const_host_device_scalarIfEENS9_IdEENS9_IS5_EEb
		.amdhsa_group_segment_fixed_size 32768
		.amdhsa_private_segment_fixed_size 0
		.amdhsa_kernarg_size 124
		.amdhsa_user_sgpr_count 2
		.amdhsa_user_sgpr_dispatch_ptr 0
		.amdhsa_user_sgpr_queue_ptr 0
		.amdhsa_user_sgpr_kernarg_segment_ptr 1
		.amdhsa_user_sgpr_dispatch_id 0
		.amdhsa_user_sgpr_kernarg_preload_length 0
		.amdhsa_user_sgpr_kernarg_preload_offset 0
		.amdhsa_user_sgpr_private_segment_size 0
		.amdhsa_wavefront_size32 1
		.amdhsa_uses_dynamic_stack 0
		.amdhsa_enable_private_segment 0
		.amdhsa_system_sgpr_workgroup_id_x 1
		.amdhsa_system_sgpr_workgroup_id_y 0
		.amdhsa_system_sgpr_workgroup_id_z 0
		.amdhsa_system_sgpr_workgroup_info 0
		.amdhsa_system_vgpr_workitem_id 0
		.amdhsa_next_free_vgpr 25
		.amdhsa_next_free_sgpr 42
		.amdhsa_named_barrier_count 0
		.amdhsa_reserve_vcc 1
		.amdhsa_float_round_mode_32 0
		.amdhsa_float_round_mode_16_64 0
		.amdhsa_float_denorm_mode_32 3
		.amdhsa_float_denorm_mode_16_64 3
		.amdhsa_fp16_overflow 0
		.amdhsa_memory_ordered 1
		.amdhsa_forward_progress 1
		.amdhsa_inst_pref_size 28
		.amdhsa_round_robin_scheduling 0
		.amdhsa_exception_fp_ieee_invalid_op 0
		.amdhsa_exception_fp_denorm_src 0
		.amdhsa_exception_fp_ieee_div_zero 0
		.amdhsa_exception_fp_ieee_overflow 0
		.amdhsa_exception_fp_ieee_underflow 0
		.amdhsa_exception_fp_ieee_inexact 0
		.amdhsa_exception_int_div_zero 0
	.end_amdhsa_kernel
	.section	.text._ZN9rocsparseL12csrilu0_hashILj256ELj64ELj16E21rocsparse_complex_numIfEEEviPKiS4_PT2_S4_PiS4_S7_S7_d21rocsparse_index_base_imNS_24const_host_device_scalarIfEENS9_IdEENS9_IS5_EEb,"axG",@progbits,_ZN9rocsparseL12csrilu0_hashILj256ELj64ELj16E21rocsparse_complex_numIfEEEviPKiS4_PT2_S4_PiS4_S7_S7_d21rocsparse_index_base_imNS_24const_host_device_scalarIfEENS9_IdEENS9_IS5_EEb,comdat
.Lfunc_end37:
	.size	_ZN9rocsparseL12csrilu0_hashILj256ELj64ELj16E21rocsparse_complex_numIfEEEviPKiS4_PT2_S4_PiS4_S7_S7_d21rocsparse_index_base_imNS_24const_host_device_scalarIfEENS9_IdEENS9_IS5_EEb, .Lfunc_end37-_ZN9rocsparseL12csrilu0_hashILj256ELj64ELj16E21rocsparse_complex_numIfEEEviPKiS4_PT2_S4_PiS4_S7_S7_d21rocsparse_index_base_imNS_24const_host_device_scalarIfEENS9_IdEENS9_IS5_EEb
                                        ; -- End function
	.set _ZN9rocsparseL12csrilu0_hashILj256ELj64ELj16E21rocsparse_complex_numIfEEEviPKiS4_PT2_S4_PiS4_S7_S7_d21rocsparse_index_base_imNS_24const_host_device_scalarIfEENS9_IdEENS9_IS5_EEb.num_vgpr, 25
	.set _ZN9rocsparseL12csrilu0_hashILj256ELj64ELj16E21rocsparse_complex_numIfEEEviPKiS4_PT2_S4_PiS4_S7_S7_d21rocsparse_index_base_imNS_24const_host_device_scalarIfEENS9_IdEENS9_IS5_EEb.num_agpr, 0
	.set _ZN9rocsparseL12csrilu0_hashILj256ELj64ELj16E21rocsparse_complex_numIfEEEviPKiS4_PT2_S4_PiS4_S7_S7_d21rocsparse_index_base_imNS_24const_host_device_scalarIfEENS9_IdEENS9_IS5_EEb.numbered_sgpr, 42
	.set _ZN9rocsparseL12csrilu0_hashILj256ELj64ELj16E21rocsparse_complex_numIfEEEviPKiS4_PT2_S4_PiS4_S7_S7_d21rocsparse_index_base_imNS_24const_host_device_scalarIfEENS9_IdEENS9_IS5_EEb.num_named_barrier, 0
	.set _ZN9rocsparseL12csrilu0_hashILj256ELj64ELj16E21rocsparse_complex_numIfEEEviPKiS4_PT2_S4_PiS4_S7_S7_d21rocsparse_index_base_imNS_24const_host_device_scalarIfEENS9_IdEENS9_IS5_EEb.private_seg_size, 0
	.set _ZN9rocsparseL12csrilu0_hashILj256ELj64ELj16E21rocsparse_complex_numIfEEEviPKiS4_PT2_S4_PiS4_S7_S7_d21rocsparse_index_base_imNS_24const_host_device_scalarIfEENS9_IdEENS9_IS5_EEb.uses_vcc, 1
	.set _ZN9rocsparseL12csrilu0_hashILj256ELj64ELj16E21rocsparse_complex_numIfEEEviPKiS4_PT2_S4_PiS4_S7_S7_d21rocsparse_index_base_imNS_24const_host_device_scalarIfEENS9_IdEENS9_IS5_EEb.uses_flat_scratch, 0
	.set _ZN9rocsparseL12csrilu0_hashILj256ELj64ELj16E21rocsparse_complex_numIfEEEviPKiS4_PT2_S4_PiS4_S7_S7_d21rocsparse_index_base_imNS_24const_host_device_scalarIfEENS9_IdEENS9_IS5_EEb.has_dyn_sized_stack, 0
	.set _ZN9rocsparseL12csrilu0_hashILj256ELj64ELj16E21rocsparse_complex_numIfEEEviPKiS4_PT2_S4_PiS4_S7_S7_d21rocsparse_index_base_imNS_24const_host_device_scalarIfEENS9_IdEENS9_IS5_EEb.has_recursion, 0
	.set _ZN9rocsparseL12csrilu0_hashILj256ELj64ELj16E21rocsparse_complex_numIfEEEviPKiS4_PT2_S4_PiS4_S7_S7_d21rocsparse_index_base_imNS_24const_host_device_scalarIfEENS9_IdEENS9_IS5_EEb.has_indirect_call, 0
	.section	.AMDGPU.csdata,"",@progbits
; Kernel info:
; codeLenInByte = 3576
; TotalNumSgprs: 44
; NumVgprs: 25
; ScratchSize: 0
; MemoryBound: 0
; FloatMode: 240
; IeeeMode: 1
; LDSByteSize: 32768 bytes/workgroup (compile time only)
; SGPRBlocks: 0
; VGPRBlocks: 1
; NumSGPRsForWavesPerEU: 44
; NumVGPRsForWavesPerEU: 25
; NamedBarCnt: 0
; Occupancy: 16
; WaveLimiterHint : 1
; COMPUTE_PGM_RSRC2:SCRATCH_EN: 0
; COMPUTE_PGM_RSRC2:USER_SGPR: 2
; COMPUTE_PGM_RSRC2:TRAP_HANDLER: 0
; COMPUTE_PGM_RSRC2:TGID_X_EN: 1
; COMPUTE_PGM_RSRC2:TGID_Y_EN: 0
; COMPUTE_PGM_RSRC2:TGID_Z_EN: 0
; COMPUTE_PGM_RSRC2:TIDIG_COMP_CNT: 0
	.section	.text._ZN9rocsparseL17csrilu0_binsearchILj256ELj64ELb0E21rocsparse_complex_numIfEEEviPKiS4_PT2_S4_PiS4_S7_S7_d21rocsparse_index_base_imNS_24const_host_device_scalarIfEENS9_IdEENS9_IS5_EEb,"axG",@progbits,_ZN9rocsparseL17csrilu0_binsearchILj256ELj64ELb0E21rocsparse_complex_numIfEEEviPKiS4_PT2_S4_PiS4_S7_S7_d21rocsparse_index_base_imNS_24const_host_device_scalarIfEENS9_IdEENS9_IS5_EEb,comdat
	.globl	_ZN9rocsparseL17csrilu0_binsearchILj256ELj64ELb0E21rocsparse_complex_numIfEEEviPKiS4_PT2_S4_PiS4_S7_S7_d21rocsparse_index_base_imNS_24const_host_device_scalarIfEENS9_IdEENS9_IS5_EEb ; -- Begin function _ZN9rocsparseL17csrilu0_binsearchILj256ELj64ELb0E21rocsparse_complex_numIfEEEviPKiS4_PT2_S4_PiS4_S7_S7_d21rocsparse_index_base_imNS_24const_host_device_scalarIfEENS9_IdEENS9_IS5_EEb
	.p2align	8
	.type	_ZN9rocsparseL17csrilu0_binsearchILj256ELj64ELb0E21rocsparse_complex_numIfEEEviPKiS4_PT2_S4_PiS4_S7_S7_d21rocsparse_index_base_imNS_24const_host_device_scalarIfEENS9_IdEENS9_IS5_EEb,@function
_ZN9rocsparseL17csrilu0_binsearchILj256ELj64ELb0E21rocsparse_complex_numIfEEEviPKiS4_PT2_S4_PiS4_S7_S7_d21rocsparse_index_base_imNS_24const_host_device_scalarIfEENS9_IdEENS9_IS5_EEb: ; @_ZN9rocsparseL17csrilu0_binsearchILj256ELj64ELb0E21rocsparse_complex_numIfEEEviPKiS4_PT2_S4_PiS4_S7_S7_d21rocsparse_index_base_imNS_24const_host_device_scalarIfEENS9_IdEENS9_IS5_EEb
; %bb.0:
	s_clause 0x2
	s_load_b32 s2, s[0:1], 0x78
	s_load_b64 s[28:29], s[0:1], 0x50
	s_load_b256 s[20:27], s[0:1], 0x58
	s_wait_kmcnt 0x0
	s_bitcmp1_b32 s2, 0
	s_cselect_b32 s4, -1, 0
	s_cmp_eq_u32 s29, 0
	s_cselect_b32 s2, -1, 0
	s_cmp_lg_u32 s29, 0
	s_cselect_b32 s5, -1, 0
	s_or_b32 s7, s2, s4
	s_delay_alu instid0(SALU_CYCLE_1)
	s_xor_b32 s6, s7, -1
	s_and_b32 s2, s2, exec_lo
	s_cselect_b32 s3, 0, s25
	s_cselect_b32 s2, 0, s24
	;; [unrolled: 1-line block ×3, first 2 shown]
	s_and_b32 vcc_lo, exec_lo, s7
	s_cbranch_vccnz .LBB38_2
; %bb.1:
	s_load_b32 s29, s[22:23], 0x0
	s_mov_b64 s[2:3], s[24:25]
.LBB38_2:
	s_delay_alu instid0(SALU_CYCLE_1)
	v_mov_b64_e32 v[4:5], s[2:3]
	s_and_not1_b32 vcc_lo, exec_lo, s6
	s_cbranch_vccnz .LBB38_4
; %bb.3:
	v_mov_b32_e32 v1, 0
	flat_load_b64 v[4:5], v1, s[24:25]
.LBB38_4:
	v_cndmask_b32_e64 v15, 0, 1, s5
	s_mov_b32 s3, 0
	s_and_not1_b32 vcc_lo, exec_lo, s5
	s_wait_xcnt 0x0
	s_mov_b32 s22, 0
	s_cbranch_vccnz .LBB38_10
; %bb.5:
	s_xor_b32 s2, s4, -1
	s_mov_b32 s3, s26
	v_cndmask_b32_e64 v1, 0, 1, s2
	s_and_not1_b32 vcc_lo, exec_lo, s2
	s_cbranch_vccnz .LBB38_7
; %bb.6:
	s_load_b32 s3, s[26:27], 0x0
.LBB38_7:
	s_delay_alu instid0(VALU_DEP_1)
	v_cmp_ne_u32_e32 vcc_lo, 1, v1
	s_cbranch_vccnz .LBB38_9
; %bb.8:
	s_wait_xcnt 0x0
	s_load_b32 s27, s[26:27], 0x4
.LBB38_9:
	s_wait_kmcnt 0x0
	s_mov_b32 s22, s27
.LBB38_10:
	s_load_b32 s2, s[0:1], 0x0
	s_bfe_u32 s4, ttmp6, 0x4000c
	s_and_b32 s5, ttmp6, 15
	s_add_co_i32 s4, s4, 1
	s_getreg_b32 s6, hwreg(HW_REG_IB_STS2, 6, 4)
	s_mul_i32 s4, ttmp9, s4
	v_lshrrev_b32_e32 v1, 6, v0
	s_add_co_i32 s5, s5, s4
	s_cmp_eq_u32 s6, 0
	s_cselect_b32 s4, ttmp9, s5
	s_delay_alu instid0(SALU_CYCLE_1) | instskip(NEXT) | instid1(SALU_CYCLE_1)
	s_lshl_b32 s4, s4, 2
	v_and_or_b32 v1, 0x3fffffc, s4, v1
	s_wait_kmcnt 0x0
	s_delay_alu instid0(VALU_DEP_1)
	v_cmp_gt_i32_e32 vcc_lo, s2, v1
	s_and_saveexec_b32 s2, vcc_lo
	s_cbranch_execz .LBB38_52
; %bb.11:
	s_load_b512 s[4:19], s[0:1], 0x8
	s_wait_kmcnt 0x0
	global_load_b32 v2, v1, s[14:15] scale_offset
	v_and_b32_e32 v14, 63, v0
	s_wait_xcnt 0x0
	s_mov_b32 s14, exec_lo
	s_wait_loadcnt 0x0
	s_clause 0x1
	global_load_b32 v1, v2, s[4:5] scale_offset
	global_load_b32 v6, v2, s[10:11] scale_offset
	v_ashrrev_i32_e32 v3, 31, v2
	s_wait_loadcnt 0x1
	v_subrev_nc_u32_e32 v8, s28, v1
	s_wait_loadcnt 0x0
	s_delay_alu instid0(VALU_DEP_1)
	v_cmpx_lt_i32_e64 v8, v6
	s_cbranch_execz .LBB38_28
; %bb.12:
	v_lshl_add_u64 v[0:1], v[2:3], 2, s[4:5]
	v_add_nc_u32_e32 v7, 1, v14
	s_mov_b32 s15, 0
	global_load_b32 v0, v[0:1], off offset:4
	s_wait_loadcnt 0x0
	v_xad_u32 v16, s28, -1, v0
	s_branch .LBB38_15
.LBB38_13:                              ;   in Loop: Header=BB38_15 Depth=1
	s_or_b32 exec_lo, exec_lo, s23
	v_cmp_ge_i32_e32 vcc_lo, v8, v6
	s_or_not1_b32 s23, vcc_lo, exec_lo
.LBB38_14:                              ;   in Loop: Header=BB38_15 Depth=1
	s_or_b32 exec_lo, exec_lo, s2
	s_delay_alu instid0(SALU_CYCLE_1) | instskip(NEXT) | instid1(SALU_CYCLE_1)
	s_and_b32 s2, exec_lo, s23
	s_or_b32 s15, s2, s15
	s_delay_alu instid0(SALU_CYCLE_1)
	s_and_not1_b32 exec_lo, exec_lo, s15
	s_cbranch_execz .LBB38_28
.LBB38_15:                              ; =>This Loop Header: Depth=1
                                        ;     Child Loop BB38_17 Depth 2
                                        ;     Child Loop BB38_22 Depth 2
                                        ;       Child Loop BB38_24 Depth 3
	s_clause 0x1
	global_load_b32 v9, v8, s[6:7] scale_offset
	global_load_b64 v[0:1], v8, s[8:9] scale_offset
	s_mov_b32 s2, exec_lo
	s_wait_loadcnt 0x1
	v_subrev_nc_u32_e32 v10, s28, v9
	s_clause 0x2
	global_load_b32 v18, v10, s[4:5] offset:4 scale_offset
	global_load_b32 v17, v10, s[10:11] scale_offset
	global_load_b32 v9, v10, s[12:13] scale_offset scope:SCOPE_DEV
	s_wait_loadcnt 0x0
	s_wait_xcnt 0x0
	v_cmpx_eq_u32_e32 0, v9
	s_cbranch_execz .LBB38_18
; %bb.16:                               ;   in Loop: Header=BB38_15 Depth=1
	v_ashrrev_i32_e32 v11, 31, v10
	s_mov_b32 s23, 0
	s_delay_alu instid0(VALU_DEP_1)
	v_lshl_add_u64 v[10:11], v[10:11], 2, s[12:13]
.LBB38_17:                              ;   Parent Loop BB38_15 Depth=1
                                        ; =>  This Inner Loop Header: Depth=2
	global_load_b32 v9, v[10:11], off scope:SCOPE_DEV
	s_wait_loadcnt 0x0
	v_cmp_ne_u32_e32 vcc_lo, 0, v9
	s_or_b32 s23, vcc_lo, s23
	s_wait_xcnt 0x0
	s_and_not1_b32 exec_lo, exec_lo, s23
	s_cbranch_execnz .LBB38_17
.LBB38_18:                              ;   in Loop: Header=BB38_15 Depth=1
	s_or_b32 exec_lo, exec_lo, s2
	v_cmp_eq_u32_e32 vcc_lo, -1, v17
	v_ashrrev_i32_e32 v9, 31, v8
	s_wait_dscnt 0x0
	global_inv scope:SCOPE_DEV
	s_mov_b32 s23, -1
	v_lshl_add_u64 v[12:13], v[8:9], 3, s[8:9]
	v_subrev_nc_u32_e32 v9, s28, v18
	s_delay_alu instid0(VALU_DEP_1) | instskip(NEXT) | instid1(VALU_DEP_1)
	v_add_nc_u32_e32 v10, -1, v9
	v_cndmask_b32_e32 v17, v17, v10, vcc_lo
	global_load_b64 v[10:11], v17, s[8:9] scale_offset
	s_wait_loadcnt 0x0
	v_cmp_neq_f32_e32 vcc_lo, 0, v10
	v_cmp_neq_f32_e64 s2, 0, v11
	s_or_b32 s2, vcc_lo, s2
	s_wait_xcnt 0x0
	s_and_saveexec_b32 s24, s2
	s_delay_alu instid0(SALU_CYCLE_1)
	s_xor_b32 s2, exec_lo, s24
	s_cbranch_execz .LBB38_14
; %bb.19:                               ;   in Loop: Header=BB38_15 Depth=1
	v_mul_f32_e32 v20, v11, v11
	s_mov_b32 s23, exec_lo
	s_delay_alu instid0(VALU_DEP_1) | instskip(NEXT) | instid1(VALU_DEP_1)
	v_dual_add_nc_u32 v8, 1, v8 :: v_dual_fmac_f32 v20, v10, v10
	v_div_scale_f32 v19, null, v20, v20, 1.0
	v_div_scale_f32 v22, vcc_lo, 1.0, v20, 1.0
	s_delay_alu instid0(VALU_DEP_2) | instskip(SKIP_1) | instid1(TRANS32_DEP_1)
	v_rcp_f32_e32 v21, v19
	v_nop
	v_fma_f32 v18, -v19, v21, 1.0
	s_delay_alu instid0(VALU_DEP_1) | instskip(NEXT) | instid1(VALU_DEP_1)
	v_fmac_f32_e32 v21, v18, v21
	v_mul_f32_e32 v23, v22, v21
	s_delay_alu instid0(VALU_DEP_1) | instskip(NEXT) | instid1(VALU_DEP_1)
	v_fma_f32 v18, -v19, v23, v22
	v_dual_fmac_f32 v23, v18, v21 :: v_dual_mov_b32 v18, v11
	s_delay_alu instid0(VALU_DEP_1) | instskip(NEXT) | instid1(VALU_DEP_2)
	v_fma_f32 v11, -v19, v23, v22
	v_pk_mul_f32 v[18:19], v[0:1], v[18:19] op_sel:[1,0] op_sel_hi:[0,0] neg_hi:[1,0]
	s_delay_alu instid0(VALU_DEP_2) | instskip(NEXT) | instid1(VALU_DEP_2)
	v_div_fmas_f32 v21, v11, v21, v23
	v_pk_fma_f32 v[10:11], v[0:1], v[10:11], v[18:19] op_sel_hi:[1,0,1]
	v_add_nc_u32_e32 v0, v7, v17
	s_delay_alu instid0(VALU_DEP_3) | instskip(NEXT) | instid1(VALU_DEP_1)
	v_div_fixup_f32 v18, v21, v20, 1.0
	v_pk_mul_f32 v[10:11], v[10:11], v[18:19] op_sel_hi:[1,0]
	global_store_b64 v[12:13], v[10:11], off
	s_wait_xcnt 0x0
	v_cmpx_lt_i32_e64 v0, v9
	s_cbranch_execz .LBB38_13
; %bb.20:                               ;   in Loop: Header=BB38_15 Depth=1
	v_xor_b32_e32 v13, 0x80000000, v10
	v_dual_mov_b32 v12, v11 :: v_dual_mov_b32 v17, v8
	s_mov_b32 s24, 0
	s_branch .LBB38_22
.LBB38_21:                              ;   in Loop: Header=BB38_22 Depth=2
	s_wait_xcnt 0x0
	s_or_b32 exec_lo, exec_lo, s25
	v_add_nc_u32_e32 v0, 64, v0
	s_delay_alu instid0(VALU_DEP_1) | instskip(SKIP_1) | instid1(SALU_CYCLE_1)
	v_cmp_ge_i32_e32 vcc_lo, v0, v9
	s_or_b32 s24, vcc_lo, s24
	s_and_not1_b32 exec_lo, exec_lo, s24
	s_cbranch_execz .LBB38_13
.LBB38_22:                              ;   Parent Loop BB38_15 Depth=1
                                        ; =>  This Loop Header: Depth=2
                                        ;       Child Loop BB38_24 Depth 3
	s_delay_alu instid0(VALU_DEP_1) | instskip(SKIP_1) | instid1(VALU_DEP_1)
	v_add_nc_u32_e32 v1, v17, v16
	s_mov_b32 s25, exec_lo
	v_ashrrev_i32_e32 v1, 1, v1
	s_clause 0x1
	global_load_b32 v18, v0, s[6:7] scale_offset
	global_load_b32 v19, v1, s[6:7] scale_offset
	s_wait_xcnt 0x0
	v_cmpx_lt_i32_e64 v17, v16
	s_cbranch_execz .LBB38_26
; %bb.23:                               ;   in Loop: Header=BB38_22 Depth=2
	v_mov_b32_e32 v20, v16
	s_mov_b32 s26, 0
.LBB38_24:                              ;   Parent Loop BB38_15 Depth=1
                                        ;     Parent Loop BB38_22 Depth=2
                                        ; =>    This Inner Loop Header: Depth=3
	s_wait_loadcnt 0x0
	v_cmp_lt_i32_e32 vcc_lo, v19, v18
	s_delay_alu instid0(VALU_DEP_2) | instskip(NEXT) | instid1(VALU_DEP_1)
	v_dual_cndmask_b32 v20, v1, v20 :: v_dual_add_nc_u32 v21, 1, v1
	v_cndmask_b32_e32 v17, v17, v21, vcc_lo
	s_delay_alu instid0(VALU_DEP_1) | instskip(SKIP_1) | instid1(VALU_DEP_2)
	v_add_nc_u32_e32 v1, v20, v17
	v_cmp_ge_i32_e32 vcc_lo, v17, v20
	v_ashrrev_i32_e32 v1, 1, v1
	s_or_b32 s26, vcc_lo, s26
	global_load_b32 v19, v1, s[6:7] scale_offset
	s_wait_xcnt 0x0
	s_and_not1_b32 exec_lo, exec_lo, s26
	s_cbranch_execnz .LBB38_24
; %bb.25:                               ;   in Loop: Header=BB38_22 Depth=2
	s_or_b32 exec_lo, exec_lo, s26
.LBB38_26:                              ;   in Loop: Header=BB38_22 Depth=2
	s_delay_alu instid0(SALU_CYCLE_1)
	s_or_b32 exec_lo, exec_lo, s25
	v_ashrrev_i32_e32 v1, 31, v0
	s_mov_b32 s25, exec_lo
	s_wait_loadcnt 0x0
	v_cmpx_eq_u32_e64 v19, v18
	s_cbranch_execz .LBB38_21
; %bb.27:                               ;   in Loop: Header=BB38_22 Depth=2
	v_lshl_add_u64 v[18:19], v[0:1], 3, s[8:9]
	s_clause 0x1
	global_load_b64 v[20:21], v[18:19], off
	global_load_b64 v[22:23], v17, s[8:9] scale_offset
	s_wait_loadcnt 0x0
	s_wait_xcnt 0x1
	v_pk_fma_f32 v[18:19], v[10:11], v[20:21], v[22:23] op_sel_hi:[1,0,1] neg_lo:[1,0,0] neg_hi:[1,0,0]
	s_delay_alu instid0(VALU_DEP_1)
	v_pk_fma_f32 v[18:19], v[12:13], v[20:21], v[18:19] op_sel:[0,1,0]
	global_store_b64 v17, v[18:19], s[8:9] scale_offset
	s_branch .LBB38_21
.LBB38_28:
	s_or_b32 exec_lo, exec_lo, s14
	s_delay_alu instid0(SALU_CYCLE_1)
	s_mov_b32 s4, exec_lo
	s_wait_storecnt_dscnt 0x0
	v_cmpx_lt_i32_e32 -1, v6
	s_cbranch_execz .LBB38_50
; %bb.29:
	global_load_b64 v[0:1], v6, s[8:9] scale_offset
	v_mov_b32_e32 v7, 0
                                        ; implicit-def: $vgpr10
	s_mov_b32 s2, exec_lo
	s_wait_loadcnt 0x0
	v_cmp_gt_f32_e32 vcc_lo, 0, v0
	v_cndmask_b32_e64 v8, v0, -v0, vcc_lo
	v_cmp_gt_f32_e32 vcc_lo, 0, v1
	v_cndmask_b32_e64 v9, v1, -v1, vcc_lo
	s_delay_alu instid0(VALU_DEP_1)
	v_cmpx_ngt_f32_e32 v8, v9
	s_xor_b32 s5, exec_lo, s2
	s_cbranch_execz .LBB38_33
; %bb.30:
	v_mov_b32_e32 v10, 0
	s_mov_b32 s6, exec_lo
	v_cmpx_neq_f32_e32 0, v1
	s_cbranch_execz .LBB38_32
; %bb.31:
	v_div_scale_f32 v10, null, v9, v9, v8
	v_div_scale_f32 v13, vcc_lo, v8, v9, v8
	s_delay_alu instid0(VALU_DEP_2) | instskip(SKIP_1) | instid1(TRANS32_DEP_1)
	v_rcp_f32_e32 v11, v10
	v_nop
	v_fma_f32 v12, -v10, v11, 1.0
	s_delay_alu instid0(VALU_DEP_1) | instskip(NEXT) | instid1(VALU_DEP_1)
	v_fmac_f32_e32 v11, v12, v11
	v_mul_f32_e32 v12, v13, v11
	s_delay_alu instid0(VALU_DEP_1) | instskip(NEXT) | instid1(VALU_DEP_1)
	v_fma_f32 v16, -v10, v12, v13
	v_fmac_f32_e32 v12, v16, v11
	s_delay_alu instid0(VALU_DEP_1) | instskip(NEXT) | instid1(VALU_DEP_1)
	v_fma_f32 v10, -v10, v12, v13
	v_div_fmas_f32 v10, v10, v11, v12
	s_delay_alu instid0(VALU_DEP_1) | instskip(NEXT) | instid1(VALU_DEP_1)
	v_div_fixup_f32 v8, v10, v9, v8
	v_fma_f32 v8, v8, v8, 1.0
	s_delay_alu instid0(VALU_DEP_1) | instskip(SKIP_1) | instid1(VALU_DEP_2)
	v_mul_f32_e32 v10, 0x4f800000, v8
	v_cmp_gt_f32_e32 vcc_lo, 0xf800000, v8
	v_cndmask_b32_e32 v8, v8, v10, vcc_lo
	s_delay_alu instid0(VALU_DEP_1) | instskip(SKIP_1) | instid1(TRANS32_DEP_1)
	v_sqrt_f32_e32 v10, v8
	v_nop
	v_dual_add_nc_u32 v11, -1, v10 :: v_dual_add_nc_u32 v12, 1, v10
	s_delay_alu instid0(VALU_DEP_1) | instskip(NEXT) | instid1(VALU_DEP_1)
	v_fma_f32 v13, -v11, v10, v8
	v_cmp_ge_f32_e64 s2, 0, v13
	s_delay_alu instid0(VALU_DEP_1) | instskip(NEXT) | instid1(VALU_DEP_1)
	v_dual_fma_f32 v16, -v12, v10, v8 :: v_dual_cndmask_b32 v10, v10, v11, s2
	v_cmp_lt_f32_e64 s2, 0, v16
	s_delay_alu instid0(VALU_DEP_1) | instskip(NEXT) | instid1(VALU_DEP_1)
	v_cndmask_b32_e64 v10, v10, v12, s2
	v_mul_f32_e32 v11, 0x37800000, v10
	s_delay_alu instid0(VALU_DEP_1) | instskip(SKIP_1) | instid1(VALU_DEP_2)
	v_cndmask_b32_e32 v10, v10, v11, vcc_lo
	v_cmp_class_f32_e64 vcc_lo, v8, 0x260
	v_cndmask_b32_e32 v8, v10, v8, vcc_lo
	s_delay_alu instid0(VALU_DEP_1)
	v_mul_f32_e32 v10, v9, v8
.LBB38_32:
	s_or_b32 exec_lo, exec_lo, s6
                                        ; implicit-def: $vgpr8
                                        ; implicit-def: $vgpr9
.LBB38_33:
	s_and_not1_saveexec_b32 s5, s5
	s_cbranch_execz .LBB38_35
; %bb.34:
	v_div_scale_f32 v10, null, v8, v8, v9
	v_div_scale_f32 v13, vcc_lo, v9, v8, v9
	s_delay_alu instid0(VALU_DEP_2) | instskip(SKIP_1) | instid1(TRANS32_DEP_1)
	v_rcp_f32_e32 v11, v10
	v_nop
	v_fma_f32 v12, -v10, v11, 1.0
	s_delay_alu instid0(VALU_DEP_1) | instskip(NEXT) | instid1(VALU_DEP_1)
	v_fmac_f32_e32 v11, v12, v11
	v_mul_f32_e32 v12, v13, v11
	s_delay_alu instid0(VALU_DEP_1) | instskip(NEXT) | instid1(VALU_DEP_1)
	v_fma_f32 v16, -v10, v12, v13
	v_fmac_f32_e32 v12, v16, v11
	s_delay_alu instid0(VALU_DEP_1) | instskip(NEXT) | instid1(VALU_DEP_1)
	v_fma_f32 v10, -v10, v12, v13
	v_div_fmas_f32 v10, v10, v11, v12
	s_delay_alu instid0(VALU_DEP_1) | instskip(NEXT) | instid1(VALU_DEP_1)
	v_div_fixup_f32 v9, v10, v8, v9
	v_fma_f32 v9, v9, v9, 1.0
	s_delay_alu instid0(VALU_DEP_1) | instskip(SKIP_1) | instid1(VALU_DEP_2)
	v_mul_f32_e32 v10, 0x4f800000, v9
	v_cmp_gt_f32_e32 vcc_lo, 0xf800000, v9
	v_cndmask_b32_e32 v9, v9, v10, vcc_lo
	s_delay_alu instid0(VALU_DEP_1) | instskip(SKIP_1) | instid1(TRANS32_DEP_1)
	v_sqrt_f32_e32 v10, v9
	v_nop
	v_dual_add_nc_u32 v11, -1, v10 :: v_dual_add_nc_u32 v12, 1, v10
	s_delay_alu instid0(VALU_DEP_1) | instskip(NEXT) | instid1(VALU_DEP_1)
	v_fma_f32 v13, -v11, v10, v9
	v_cmp_ge_f32_e64 s2, 0, v13
	s_delay_alu instid0(VALU_DEP_1) | instskip(NEXT) | instid1(VALU_DEP_1)
	v_dual_fma_f32 v16, -v12, v10, v9 :: v_dual_cndmask_b32 v10, v10, v11, s2
	v_cmp_lt_f32_e64 s2, 0, v16
	s_delay_alu instid0(VALU_DEP_1) | instskip(NEXT) | instid1(VALU_DEP_1)
	v_cndmask_b32_e64 v10, v10, v12, s2
	v_mul_f32_e32 v11, 0x37800000, v10
	s_delay_alu instid0(VALU_DEP_1) | instskip(SKIP_1) | instid1(VALU_DEP_2)
	v_cndmask_b32_e32 v10, v10, v11, vcc_lo
	v_cmp_class_f32_e64 vcc_lo, v9, 0x260
	v_cndmask_b32_e32 v9, v10, v9, vcc_lo
	s_delay_alu instid0(VALU_DEP_1)
	v_mul_f32_e32 v10, v8, v9
.LBB38_35:
	s_or_b32 exec_lo, exec_lo, s5
	s_delay_alu instid0(VALU_DEP_1)
	v_cvt_f64_f32_e32 v[8:9], v10
	v_cmp_ne_u32_e32 vcc_lo, 1, v15
	v_cmp_eq_u32_e64 s2, 0, v14
	s_mov_b32 s5, -1
	s_cbranch_vccnz .LBB38_39
; %bb.36:
	v_cvt_f64_f32_e32 v[10:11], s29
	s_cmp_eq_u64 s[20:21], 8
	s_cselect_b32 vcc_lo, -1, 0
	s_delay_alu instid0(VALU_DEP_1) | instskip(NEXT) | instid1(VALU_DEP_1)
	v_dual_cndmask_b32 v5, v11, v5 :: v_dual_cndmask_b32 v4, v10, v4
	v_cmp_ge_f64_e32 vcc_lo, v[4:5], v[8:9]
	s_and_b32 s6, s2, vcc_lo
	s_delay_alu instid0(SALU_CYCLE_1)
	s_and_saveexec_b32 s5, s6
	s_cbranch_execz .LBB38_38
; %bb.37:
	v_lshl_add_u64 v[4:5], v[6:7], 3, s[8:9]
	v_dual_mov_b32 v6, s3 :: v_dual_mov_b32 v7, s22
	global_store_b64 v[4:5], v[6:7], off
.LBB38_38:
	s_wait_xcnt 0x0
	s_or_b32 exec_lo, exec_lo, s5
	s_mov_b32 s5, 0
.LBB38_39:
	s_delay_alu instid0(SALU_CYCLE_1)
	s_and_not1_b32 vcc_lo, exec_lo, s5
	s_cbranch_vccnz .LBB38_50
; %bb.40:
	s_load_b64 s[0:1], s[0:1], 0x48
	v_add_nc_u32_e32 v4, s28, v2
	s_wait_kmcnt 0x0
	v_cmp_ge_f64_e32 vcc_lo, s[0:1], v[8:9]
	s_and_b32 s1, s2, vcc_lo
	s_delay_alu instid0(SALU_CYCLE_1)
	s_and_saveexec_b32 s0, s1
	s_cbranch_execz .LBB38_45
; %bb.41:
	s_mov_b32 s3, exec_lo
	s_brev_b32 s1, -2
.LBB38_42:                              ; =>This Inner Loop Header: Depth=1
	s_ctz_i32_b32 s5, s3
	s_delay_alu instid0(SALU_CYCLE_1) | instskip(SKIP_1) | instid1(SALU_CYCLE_1)
	v_readlane_b32 s6, v4, s5
	s_lshl_b32 s5, 1, s5
	s_and_not1_b32 s3, s3, s5
	s_min_i32 s1, s1, s6
	s_cmp_lg_u32 s3, 0
	s_cbranch_scc1 .LBB38_42
; %bb.43:
	v_mbcnt_lo_u32_b32 v5, exec_lo, 0
	s_mov_b32 s3, exec_lo
	s_delay_alu instid0(VALU_DEP_1)
	v_cmpx_eq_u32_e32 0, v5
	s_xor_b32 s3, exec_lo, s3
	s_cbranch_execz .LBB38_45
; %bb.44:
	v_dual_mov_b32 v5, 0 :: v_dual_mov_b32 v6, s1
	global_atomic_min_i32 v5, v6, s[18:19] scope:SCOPE_DEV
.LBB38_45:
	s_wait_xcnt 0x0
	s_or_b32 exec_lo, exec_lo, s0
	v_cmp_eq_f32_e32 vcc_lo, 0, v0
	v_cmp_eq_f32_e64 s0, 0, v1
	s_and_b32 s0, vcc_lo, s0
	s_delay_alu instid0(SALU_CYCLE_1) | instskip(NEXT) | instid1(SALU_CYCLE_1)
	s_and_b32 s0, s2, s0
	s_and_b32 exec_lo, exec_lo, s0
	s_cbranch_execz .LBB38_50
; %bb.46:
	s_mov_b32 s1, exec_lo
	s_brev_b32 s0, -2
.LBB38_47:                              ; =>This Inner Loop Header: Depth=1
	s_ctz_i32_b32 s2, s1
	s_delay_alu instid0(SALU_CYCLE_1) | instskip(SKIP_1) | instid1(SALU_CYCLE_1)
	v_readlane_b32 s3, v4, s2
	s_lshl_b32 s2, 1, s2
	s_and_not1_b32 s1, s1, s2
	s_min_i32 s0, s0, s3
	s_cmp_lg_u32 s1, 0
	s_cbranch_scc1 .LBB38_47
; %bb.48:
	v_mbcnt_lo_u32_b32 v0, exec_lo, 0
	s_mov_b32 s1, exec_lo
	s_delay_alu instid0(VALU_DEP_1)
	v_cmpx_eq_u32_e32 0, v0
	s_xor_b32 s1, exec_lo, s1
	s_cbranch_execz .LBB38_50
; %bb.49:
	v_dual_mov_b32 v0, 0 :: v_dual_mov_b32 v1, s0
	global_atomic_min_i32 v0, v1, s[16:17] scope:SCOPE_DEV
.LBB38_50:
	s_wait_xcnt 0x0
	s_or_b32 exec_lo, exec_lo, s4
	v_cmp_eq_u32_e32 vcc_lo, 0, v14
	global_wb scope:SCOPE_DEV
	s_wait_storecnt 0x0
	global_inv scope:SCOPE_DEV
	s_and_b32 exec_lo, exec_lo, vcc_lo
	s_cbranch_execz .LBB38_52
; %bb.51:
	v_lshl_add_u64 v[0:1], v[2:3], 2, s[12:13]
	v_mov_b32_e32 v2, 1
	global_wb scope:SCOPE_DEV
	s_wait_loadcnt 0x0
	s_wait_storecnt 0x0
	global_store_b32 v[0:1], v2, off scope:SCOPE_DEV
.LBB38_52:
	s_endpgm
	.section	.rodata,"a",@progbits
	.p2align	6, 0x0
	.amdhsa_kernel _ZN9rocsparseL17csrilu0_binsearchILj256ELj64ELb0E21rocsparse_complex_numIfEEEviPKiS4_PT2_S4_PiS4_S7_S7_d21rocsparse_index_base_imNS_24const_host_device_scalarIfEENS9_IdEENS9_IS5_EEb
		.amdhsa_group_segment_fixed_size 0
		.amdhsa_private_segment_fixed_size 0
		.amdhsa_kernarg_size 124
		.amdhsa_user_sgpr_count 2
		.amdhsa_user_sgpr_dispatch_ptr 0
		.amdhsa_user_sgpr_queue_ptr 0
		.amdhsa_user_sgpr_kernarg_segment_ptr 1
		.amdhsa_user_sgpr_dispatch_id 0
		.amdhsa_user_sgpr_kernarg_preload_length 0
		.amdhsa_user_sgpr_kernarg_preload_offset 0
		.amdhsa_user_sgpr_private_segment_size 0
		.amdhsa_wavefront_size32 1
		.amdhsa_uses_dynamic_stack 0
		.amdhsa_enable_private_segment 0
		.amdhsa_system_sgpr_workgroup_id_x 1
		.amdhsa_system_sgpr_workgroup_id_y 0
		.amdhsa_system_sgpr_workgroup_id_z 0
		.amdhsa_system_sgpr_workgroup_info 0
		.amdhsa_system_vgpr_workitem_id 0
		.amdhsa_next_free_vgpr 24
		.amdhsa_next_free_sgpr 30
		.amdhsa_named_barrier_count 0
		.amdhsa_reserve_vcc 1
		.amdhsa_float_round_mode_32 0
		.amdhsa_float_round_mode_16_64 0
		.amdhsa_float_denorm_mode_32 3
		.amdhsa_float_denorm_mode_16_64 3
		.amdhsa_fp16_overflow 0
		.amdhsa_memory_ordered 1
		.amdhsa_forward_progress 1
		.amdhsa_inst_pref_size 19
		.amdhsa_round_robin_scheduling 0
		.amdhsa_exception_fp_ieee_invalid_op 0
		.amdhsa_exception_fp_denorm_src 0
		.amdhsa_exception_fp_ieee_div_zero 0
		.amdhsa_exception_fp_ieee_overflow 0
		.amdhsa_exception_fp_ieee_underflow 0
		.amdhsa_exception_fp_ieee_inexact 0
		.amdhsa_exception_int_div_zero 0
	.end_amdhsa_kernel
	.section	.text._ZN9rocsparseL17csrilu0_binsearchILj256ELj64ELb0E21rocsparse_complex_numIfEEEviPKiS4_PT2_S4_PiS4_S7_S7_d21rocsparse_index_base_imNS_24const_host_device_scalarIfEENS9_IdEENS9_IS5_EEb,"axG",@progbits,_ZN9rocsparseL17csrilu0_binsearchILj256ELj64ELb0E21rocsparse_complex_numIfEEEviPKiS4_PT2_S4_PiS4_S7_S7_d21rocsparse_index_base_imNS_24const_host_device_scalarIfEENS9_IdEENS9_IS5_EEb,comdat
.Lfunc_end38:
	.size	_ZN9rocsparseL17csrilu0_binsearchILj256ELj64ELb0E21rocsparse_complex_numIfEEEviPKiS4_PT2_S4_PiS4_S7_S7_d21rocsparse_index_base_imNS_24const_host_device_scalarIfEENS9_IdEENS9_IS5_EEb, .Lfunc_end38-_ZN9rocsparseL17csrilu0_binsearchILj256ELj64ELb0E21rocsparse_complex_numIfEEEviPKiS4_PT2_S4_PiS4_S7_S7_d21rocsparse_index_base_imNS_24const_host_device_scalarIfEENS9_IdEENS9_IS5_EEb
                                        ; -- End function
	.set _ZN9rocsparseL17csrilu0_binsearchILj256ELj64ELb0E21rocsparse_complex_numIfEEEviPKiS4_PT2_S4_PiS4_S7_S7_d21rocsparse_index_base_imNS_24const_host_device_scalarIfEENS9_IdEENS9_IS5_EEb.num_vgpr, 24
	.set _ZN9rocsparseL17csrilu0_binsearchILj256ELj64ELb0E21rocsparse_complex_numIfEEEviPKiS4_PT2_S4_PiS4_S7_S7_d21rocsparse_index_base_imNS_24const_host_device_scalarIfEENS9_IdEENS9_IS5_EEb.num_agpr, 0
	.set _ZN9rocsparseL17csrilu0_binsearchILj256ELj64ELb0E21rocsparse_complex_numIfEEEviPKiS4_PT2_S4_PiS4_S7_S7_d21rocsparse_index_base_imNS_24const_host_device_scalarIfEENS9_IdEENS9_IS5_EEb.numbered_sgpr, 30
	.set _ZN9rocsparseL17csrilu0_binsearchILj256ELj64ELb0E21rocsparse_complex_numIfEEEviPKiS4_PT2_S4_PiS4_S7_S7_d21rocsparse_index_base_imNS_24const_host_device_scalarIfEENS9_IdEENS9_IS5_EEb.num_named_barrier, 0
	.set _ZN9rocsparseL17csrilu0_binsearchILj256ELj64ELb0E21rocsparse_complex_numIfEEEviPKiS4_PT2_S4_PiS4_S7_S7_d21rocsparse_index_base_imNS_24const_host_device_scalarIfEENS9_IdEENS9_IS5_EEb.private_seg_size, 0
	.set _ZN9rocsparseL17csrilu0_binsearchILj256ELj64ELb0E21rocsparse_complex_numIfEEEviPKiS4_PT2_S4_PiS4_S7_S7_d21rocsparse_index_base_imNS_24const_host_device_scalarIfEENS9_IdEENS9_IS5_EEb.uses_vcc, 1
	.set _ZN9rocsparseL17csrilu0_binsearchILj256ELj64ELb0E21rocsparse_complex_numIfEEEviPKiS4_PT2_S4_PiS4_S7_S7_d21rocsparse_index_base_imNS_24const_host_device_scalarIfEENS9_IdEENS9_IS5_EEb.uses_flat_scratch, 0
	.set _ZN9rocsparseL17csrilu0_binsearchILj256ELj64ELb0E21rocsparse_complex_numIfEEEviPKiS4_PT2_S4_PiS4_S7_S7_d21rocsparse_index_base_imNS_24const_host_device_scalarIfEENS9_IdEENS9_IS5_EEb.has_dyn_sized_stack, 0
	.set _ZN9rocsparseL17csrilu0_binsearchILj256ELj64ELb0E21rocsparse_complex_numIfEEEviPKiS4_PT2_S4_PiS4_S7_S7_d21rocsparse_index_base_imNS_24const_host_device_scalarIfEENS9_IdEENS9_IS5_EEb.has_recursion, 0
	.set _ZN9rocsparseL17csrilu0_binsearchILj256ELj64ELb0E21rocsparse_complex_numIfEEEviPKiS4_PT2_S4_PiS4_S7_S7_d21rocsparse_index_base_imNS_24const_host_device_scalarIfEENS9_IdEENS9_IS5_EEb.has_indirect_call, 0
	.section	.AMDGPU.csdata,"",@progbits
; Kernel info:
; codeLenInByte = 2348
; TotalNumSgprs: 32
; NumVgprs: 24
; ScratchSize: 0
; MemoryBound: 0
; FloatMode: 240
; IeeeMode: 1
; LDSByteSize: 0 bytes/workgroup (compile time only)
; SGPRBlocks: 0
; VGPRBlocks: 1
; NumSGPRsForWavesPerEU: 32
; NumVGPRsForWavesPerEU: 24
; NamedBarCnt: 0
; Occupancy: 16
; WaveLimiterHint : 1
; COMPUTE_PGM_RSRC2:SCRATCH_EN: 0
; COMPUTE_PGM_RSRC2:USER_SGPR: 2
; COMPUTE_PGM_RSRC2:TRAP_HANDLER: 0
; COMPUTE_PGM_RSRC2:TGID_X_EN: 1
; COMPUTE_PGM_RSRC2:TGID_Y_EN: 0
; COMPUTE_PGM_RSRC2:TGID_Z_EN: 0
; COMPUTE_PGM_RSRC2:TIDIG_COMP_CNT: 0
	.section	.text._ZN9rocsparseL17csrilu0_binsearchILj256ELj64ELb1E21rocsparse_complex_numIdEEEviPKiS4_PT2_S4_PiS4_S7_S7_d21rocsparse_index_base_imNS_24const_host_device_scalarIfEENS9_IdEENS9_IS5_EEb,"axG",@progbits,_ZN9rocsparseL17csrilu0_binsearchILj256ELj64ELb1E21rocsparse_complex_numIdEEEviPKiS4_PT2_S4_PiS4_S7_S7_d21rocsparse_index_base_imNS_24const_host_device_scalarIfEENS9_IdEENS9_IS5_EEb,comdat
	.globl	_ZN9rocsparseL17csrilu0_binsearchILj256ELj64ELb1E21rocsparse_complex_numIdEEEviPKiS4_PT2_S4_PiS4_S7_S7_d21rocsparse_index_base_imNS_24const_host_device_scalarIfEENS9_IdEENS9_IS5_EEb ; -- Begin function _ZN9rocsparseL17csrilu0_binsearchILj256ELj64ELb1E21rocsparse_complex_numIdEEEviPKiS4_PT2_S4_PiS4_S7_S7_d21rocsparse_index_base_imNS_24const_host_device_scalarIfEENS9_IdEENS9_IS5_EEb
	.p2align	8
	.type	_ZN9rocsparseL17csrilu0_binsearchILj256ELj64ELb1E21rocsparse_complex_numIdEEEviPKiS4_PT2_S4_PiS4_S7_S7_d21rocsparse_index_base_imNS_24const_host_device_scalarIfEENS9_IdEENS9_IS5_EEb,@function
_ZN9rocsparseL17csrilu0_binsearchILj256ELj64ELb1E21rocsparse_complex_numIdEEEviPKiS4_PT2_S4_PiS4_S7_S7_d21rocsparse_index_base_imNS_24const_host_device_scalarIfEENS9_IdEENS9_IS5_EEb: ; @_ZN9rocsparseL17csrilu0_binsearchILj256ELj64ELb1E21rocsparse_complex_numIdEEEviPKiS4_PT2_S4_PiS4_S7_S7_d21rocsparse_index_base_imNS_24const_host_device_scalarIfEENS9_IdEENS9_IS5_EEb
; %bb.0:
	s_clause 0x2
	s_load_b96 s[4:6], s[0:1], 0x78
	s_load_b64 s[28:29], s[0:1], 0x50
	s_load_b256 s[20:27], s[0:1], 0x58
	s_wait_kmcnt 0x0
	s_bitcmp1_b32 s6, 0
	s_cselect_b32 s2, -1, 0
	s_cmp_eq_u32 s29, 0
	v_mov_b64_e32 v[2:3], s[26:27]
	s_cselect_b32 s3, -1, 0
	s_cmp_lg_u32 s29, 0
	s_cselect_b32 s8, -1, 0
	s_or_b32 s10, s3, s2
	s_delay_alu instid0(SALU_CYCLE_1)
	s_xor_b32 s9, s10, -1
	s_and_b32 s3, s3, exec_lo
	s_cselect_b32 s7, 0, s25
	s_cselect_b32 s6, 0, s24
	;; [unrolled: 1-line block ×3, first 2 shown]
	s_and_b32 vcc_lo, exec_lo, s10
	scratch_store_b64 off, v[2:3], off
	s_cbranch_vccnz .LBB39_2
; %bb.1:
	s_load_b32 s3, s[22:23], 0x0
	s_mov_b64 s[6:7], s[24:25]
.LBB39_2:
	s_delay_alu instid0(SALU_CYCLE_1)
	v_mov_b64_e32 v[16:17], s[6:7]
	s_and_not1_b32 vcc_lo, exec_lo, s9
	s_cbranch_vccnz .LBB39_4
; %bb.3:
	v_mov_b32_e32 v1, 0
	flat_load_b64 v[16:17], v1, s[24:25]
.LBB39_4:
	s_wait_xcnt 0x0
	v_mov_b64_e32 v[2:3], 0
	v_mov_b64_e32 v[4:5], 0
	v_cndmask_b32_e64 v19, 0, 1, s8
	s_and_not1_b32 vcc_lo, exec_lo, s8
	s_cbranch_vccnz .LBB39_7
; %bb.5:
	v_mbcnt_lo_u32_b32 v1, -1, 0
	v_mov_b32_e32 v2, 0
	v_mov_b64_e32 v[4:5], s[4:5]
	s_delay_alu instid0(VALU_DEP_3) | instskip(NEXT) | instid1(VALU_DEP_1)
	v_lshlrev_b32_e32 v3, 20, v1
	v_add_nc_u64_e32 v[2:3], src_flat_scratch_base_lo, v[2:3]
	s_delay_alu instid0(VALU_DEP_1) | instskip(NEXT) | instid1(VALU_DEP_2)
	v_cndmask_b32_e64 v3, s27, v3, s2
	v_cndmask_b32_e64 v2, s26, v2, s2
	s_xor_b32 s2, s2, -1
	s_delay_alu instid0(SALU_CYCLE_1)
	s_and_not1_b32 vcc_lo, exec_lo, s2
	flat_load_b64 v[2:3], v[2:3]
	s_cbranch_vccnz .LBB39_7
; %bb.6:
	v_mov_b32_e32 v1, 0
	flat_load_b64 v[4:5], v1, s[26:27] offset:8
.LBB39_7:
	s_load_b32 s2, s[0:1], 0x0
	s_bfe_u32 s4, ttmp6, 0x4000c
	s_and_b32 s5, ttmp6, 15
	s_add_co_i32 s4, s4, 1
	s_getreg_b32 s6, hwreg(HW_REG_IB_STS2, 6, 4)
	s_mul_i32 s4, ttmp9, s4
	v_lshrrev_b32_e32 v1, 6, v0
	s_add_co_i32 s5, s5, s4
	s_cmp_eq_u32 s6, 0
	s_cselect_b32 s4, ttmp9, s5
	s_delay_alu instid0(SALU_CYCLE_1) | instskip(NEXT) | instid1(SALU_CYCLE_1)
	s_lshl_b32 s4, s4, 2
	v_and_or_b32 v1, 0x3fffffc, s4, v1
	s_wait_kmcnt 0x0
	s_delay_alu instid0(VALU_DEP_1)
	v_cmp_gt_i32_e32 vcc_lo, s2, v1
	s_and_saveexec_b32 s2, vcc_lo
	s_cbranch_execz .LBB39_51
; %bb.8:
	s_load_b512 s[4:19], s[0:1], 0x8
	s_wait_kmcnt 0x0
	global_load_b32 v14, v1, s[14:15] scale_offset
	v_and_b32_e32 v24, 63, v0
	s_wait_xcnt 0x0
	s_mov_b32 s14, exec_lo
	s_wait_loadcnt 0x0
	s_clause 0x1
	global_load_b32 v1, v14, s[4:5] scale_offset
	global_load_b32 v18, v14, s[10:11] scale_offset
	v_ashrrev_i32_e32 v15, 31, v14
	s_wait_loadcnt 0x1
	v_subrev_nc_u32_e32 v20, s28, v1
	s_wait_loadcnt 0x0
	s_delay_alu instid0(VALU_DEP_1)
	v_cmpx_lt_i32_e64 v20, v18
	s_cbranch_execz .LBB39_27
; %bb.9:
	v_lshl_add_u64 v[0:1], v[14:15], 2, s[4:5]
	v_add_nc_u32_e32 v25, 1, v24
	s_mov_b32 s15, 0
	global_load_b32 v0, v[0:1], off offset:4
	s_wait_loadcnt 0x0
	v_xad_u32 v26, s28, -1, v0
	s_branch .LBB39_12
.LBB39_10:                              ;   in Loop: Header=BB39_12 Depth=1
	s_or_b32 exec_lo, exec_lo, s22
	v_cmp_ge_i32_e32 vcc_lo, v20, v18
	s_or_not1_b32 s22, vcc_lo, exec_lo
.LBB39_11:                              ;   in Loop: Header=BB39_12 Depth=1
	s_or_b32 exec_lo, exec_lo, s2
	s_delay_alu instid0(SALU_CYCLE_1) | instskip(NEXT) | instid1(SALU_CYCLE_1)
	s_and_b32 s2, exec_lo, s22
	s_or_b32 s15, s2, s15
	s_delay_alu instid0(SALU_CYCLE_1)
	s_and_not1_b32 exec_lo, exec_lo, s15
	s_cbranch_execz .LBB39_27
.LBB39_12:                              ; =>This Loop Header: Depth=1
                                        ;     Child Loop BB39_15 Depth 2
                                        ;       Child Loop BB39_16 Depth 3
                                        ;     Child Loop BB39_21 Depth 2
                                        ;       Child Loop BB39_23 Depth 3
	s_clause 0x1
	global_load_b32 v0, v20, s[6:7] scale_offset
	global_load_b128 v[6:9], v20, s[8:9] scale_offset
	s_mov_b32 s2, exec_lo
	s_wait_loadcnt 0x1
	v_subrev_nc_u32_e32 v0, s28, v0
	s_clause 0x2
	global_load_b32 v11, v0, s[4:5] offset:4 scale_offset
	global_load_b32 v10, v0, s[10:11] scale_offset
	global_load_b32 v1, v0, s[12:13] scale_offset scope:SCOPE_DEV
	s_wait_loadcnt 0x0
	s_wait_xcnt 0x0
	v_cmpx_eq_u32_e32 0, v1
	s_cbranch_execz .LBB39_17
; %bb.13:                               ;   in Loop: Header=BB39_12 Depth=1
	v_ashrrev_i32_e32 v1, 31, v0
	s_mov_b32 s22, 0
	s_mov_b32 s23, 0
	s_delay_alu instid0(VALU_DEP_1)
	v_lshl_add_u64 v[0:1], v[0:1], 2, s[12:13]
	s_branch .LBB39_15
.LBB39_14:                              ;   in Loop: Header=BB39_15 Depth=2
	global_load_b32 v12, v[0:1], off scope:SCOPE_DEV
	s_cmp_lt_u32 s23, 0xf43
	s_cselect_b32 s24, -1, 0
	s_delay_alu instid0(SALU_CYCLE_1)
	s_cmp_lg_u32 s24, 0
	s_add_co_ci_u32 s23, s23, 0
	s_wait_loadcnt 0x0
	v_cmp_ne_u32_e32 vcc_lo, 0, v12
	s_or_b32 s22, vcc_lo, s22
	s_wait_xcnt 0x0
	s_and_not1_b32 exec_lo, exec_lo, s22
	s_cbranch_execz .LBB39_17
.LBB39_15:                              ;   Parent Loop BB39_12 Depth=1
                                        ; =>  This Loop Header: Depth=2
                                        ;       Child Loop BB39_16 Depth 3
	s_cmp_eq_u32 s23, 0
	s_mov_b32 s24, s23
	s_cbranch_scc1 .LBB39_14
.LBB39_16:                              ;   Parent Loop BB39_12 Depth=1
                                        ;     Parent Loop BB39_15 Depth=2
                                        ; =>    This Inner Loop Header: Depth=3
	s_add_co_i32 s24, s24, -1
	s_sleep 1
	s_cmp_eq_u32 s24, 0
	s_cbranch_scc0 .LBB39_16
	s_branch .LBB39_14
.LBB39_17:                              ;   in Loop: Header=BB39_12 Depth=1
	s_or_b32 exec_lo, exec_lo, s2
	v_ashrrev_i32_e32 v21, 31, v20
	v_cmp_eq_u32_e32 vcc_lo, -1, v10
	s_wait_storecnt_dscnt 0x0
	global_inv scope:SCOPE_DEV
	s_mov_b32 s22, -1
	v_lshl_add_u64 v[22:23], v[20:21], 4, s[8:9]
	v_subrev_nc_u32_e32 v21, s28, v11
	s_delay_alu instid0(VALU_DEP_1) | instskip(NEXT) | instid1(VALU_DEP_1)
	v_add_nc_u32_e32 v0, -1, v21
	v_cndmask_b32_e32 v0, v10, v0, vcc_lo
	global_load_b128 v[10:13], v0, s[8:9] scale_offset
	s_wait_loadcnt 0x0
	v_cmp_neq_f64_e32 vcc_lo, 0, v[10:11]
	v_cmp_neq_f64_e64 s2, 0, v[12:13]
	s_or_b32 s2, vcc_lo, s2
	s_wait_xcnt 0x0
	s_and_saveexec_b32 s23, s2
	s_delay_alu instid0(SALU_CYCLE_1)
	s_xor_b32 s2, exec_lo, s23
	s_cbranch_execz .LBB39_11
; %bb.18:                               ;   in Loop: Header=BB39_12 Depth=1
	v_mul_f64_e32 v[28:29], v[12:13], v[12:13]
	s_mov_b32 s22, exec_lo
	v_add_nc_u32_e32 v0, v25, v0
	v_add_nc_u32_e32 v20, 1, v20
	s_delay_alu instid0(VALU_DEP_3) | instskip(NEXT) | instid1(VALU_DEP_1)
	v_fmac_f64_e32 v[28:29], v[10:11], v[10:11]
	v_div_scale_f64 v[30:31], null, v[28:29], v[28:29], 1.0
	v_div_scale_f64 v[36:37], vcc_lo, 1.0, v[28:29], 1.0
	s_delay_alu instid0(VALU_DEP_2) | instskip(SKIP_1) | instid1(TRANS32_DEP_1)
	v_rcp_f64_e32 v[32:33], v[30:31]
	v_nop
	v_fma_f64 v[34:35], -v[30:31], v[32:33], 1.0
	s_delay_alu instid0(VALU_DEP_1) | instskip(NEXT) | instid1(VALU_DEP_1)
	v_fmac_f64_e32 v[32:33], v[32:33], v[34:35]
	v_fma_f64 v[34:35], -v[30:31], v[32:33], 1.0
	s_delay_alu instid0(VALU_DEP_1) | instskip(NEXT) | instid1(VALU_DEP_1)
	v_fmac_f64_e32 v[32:33], v[32:33], v[34:35]
	v_mul_f64_e32 v[34:35], v[36:37], v[32:33]
	s_delay_alu instid0(VALU_DEP_1) | instskip(SKIP_2) | instid1(VALU_DEP_3)
	v_fma_f64 v[30:31], -v[30:31], v[34:35], v[36:37]
	v_mul_f64_e32 v[36:37], v[8:9], v[12:13]
	v_mul_f64_e64 v[12:13], v[12:13], -v[6:7]
	v_div_fmas_f64 v[30:31], v[30:31], v[32:33], v[34:35]
	s_delay_alu instid0(VALU_DEP_3) | instskip(NEXT) | instid1(VALU_DEP_3)
	v_fmac_f64_e32 v[36:37], v[6:7], v[10:11]
	v_fmac_f64_e32 v[12:13], v[8:9], v[10:11]
	s_delay_alu instid0(VALU_DEP_3) | instskip(NEXT) | instid1(VALU_DEP_1)
	v_div_fixup_f64 v[28:29], v[30:31], v[28:29], 1.0
	v_mul_f64_e32 v[6:7], v[36:37], v[28:29]
	s_delay_alu instid0(VALU_DEP_3)
	v_mul_f64_e32 v[8:9], v[12:13], v[28:29]
	global_store_b128 v[22:23], v[6:9], off
	s_wait_xcnt 0x0
	v_cmpx_lt_i32_e64 v0, v21
	s_cbranch_execz .LBB39_10
; %bb.19:                               ;   in Loop: Header=BB39_12 Depth=1
	v_mov_b32_e32 v10, v20
	s_mov_b32 s23, 0
	s_branch .LBB39_21
.LBB39_20:                              ;   in Loop: Header=BB39_21 Depth=2
	s_wait_xcnt 0x0
	s_or_b32 exec_lo, exec_lo, s24
	v_add_nc_u32_e32 v0, 64, v0
	s_delay_alu instid0(VALU_DEP_1) | instskip(SKIP_1) | instid1(SALU_CYCLE_1)
	v_cmp_ge_i32_e32 vcc_lo, v0, v21
	s_or_b32 s23, vcc_lo, s23
	s_and_not1_b32 exec_lo, exec_lo, s23
	s_cbranch_execz .LBB39_10
.LBB39_21:                              ;   Parent Loop BB39_12 Depth=1
                                        ; =>  This Loop Header: Depth=2
                                        ;       Child Loop BB39_23 Depth 3
	s_delay_alu instid0(VALU_DEP_1) | instskip(SKIP_1) | instid1(VALU_DEP_1)
	v_add_nc_u32_e32 v1, v10, v26
	s_mov_b32 s24, exec_lo
	v_ashrrev_i32_e32 v1, 1, v1
	s_clause 0x1
	global_load_b32 v11, v0, s[6:7] scale_offset
	global_load_b32 v12, v1, s[6:7] scale_offset
	s_wait_xcnt 0x0
	v_cmpx_lt_i32_e64 v10, v26
	s_cbranch_execz .LBB39_25
; %bb.22:                               ;   in Loop: Header=BB39_21 Depth=2
	v_mov_b32_e32 v13, v26
	s_mov_b32 s25, 0
.LBB39_23:                              ;   Parent Loop BB39_12 Depth=1
                                        ;     Parent Loop BB39_21 Depth=2
                                        ; =>    This Inner Loop Header: Depth=3
	s_wait_loadcnt 0x0
	v_cmp_lt_i32_e32 vcc_lo, v12, v11
	s_delay_alu instid0(VALU_DEP_2) | instskip(SKIP_1) | instid1(VALU_DEP_1)
	v_cndmask_b32_e32 v13, v1, v13, vcc_lo
	v_add_nc_u32_e32 v22, 1, v1
	v_cndmask_b32_e32 v10, v10, v22, vcc_lo
	s_delay_alu instid0(VALU_DEP_1) | instskip(SKIP_1) | instid1(VALU_DEP_2)
	v_add_nc_u32_e32 v1, v13, v10
	v_cmp_ge_i32_e32 vcc_lo, v10, v13
	v_ashrrev_i32_e32 v1, 1, v1
	s_or_b32 s25, vcc_lo, s25
	global_load_b32 v12, v1, s[6:7] scale_offset
	s_wait_xcnt 0x0
	s_and_not1_b32 exec_lo, exec_lo, s25
	s_cbranch_execnz .LBB39_23
; %bb.24:                               ;   in Loop: Header=BB39_21 Depth=2
	s_or_b32 exec_lo, exec_lo, s25
.LBB39_25:                              ;   in Loop: Header=BB39_21 Depth=2
	s_delay_alu instid0(SALU_CYCLE_1)
	s_or_b32 exec_lo, exec_lo, s24
	v_ashrrev_i32_e32 v1, 31, v0
	s_mov_b32 s24, exec_lo
	s_wait_loadcnt 0x0
	v_cmpx_eq_u32_e64 v12, v11
	s_cbranch_execz .LBB39_20
; %bb.26:                               ;   in Loop: Header=BB39_21 Depth=2
	v_lshl_add_u64 v[12:13], v[0:1], 4, s[8:9]
	s_clause 0x1
	global_load_b128 v[28:31], v[12:13], off
	global_load_b128 v[32:35], v10, s[8:9] scale_offset
	s_wait_loadcnt 0x0
	v_fma_f64 v[32:33], -v[6:7], v[28:29], v[32:33]
	s_wait_xcnt 0x1
	v_fma_f64 v[12:13], -v[8:9], v[28:29], v[34:35]
	s_delay_alu instid0(VALU_DEP_2) | instskip(NEXT) | instid1(VALU_DEP_2)
	v_fmac_f64_e32 v[32:33], v[8:9], v[30:31]
	v_fma_f64 v[34:35], -v[6:7], v[30:31], v[12:13]
	global_store_b128 v10, v[32:35], s[8:9] scale_offset
	s_branch .LBB39_20
.LBB39_27:
	s_or_b32 exec_lo, exec_lo, s14
	s_delay_alu instid0(SALU_CYCLE_1)
	s_mov_b32 s4, exec_lo
	s_wait_storecnt_dscnt 0x0
	v_cmpx_lt_i32_e32 -1, v18
	s_cbranch_execz .LBB39_49
; %bb.28:
	global_load_b128 v[6:9], v18, s[8:9] scale_offset
	s_mov_b32 s2, exec_lo
                                        ; implicit-def: $vgpr12_vgpr13
	s_wait_loadcnt 0x0
	v_cmp_gt_f64_e32 vcc_lo, 0, v[6:7]
	v_xor_b32_e32 v1, 0x80000000, v7
	v_mov_b32_e32 v0, v6
	v_xor_b32_e32 v10, 0x80000000, v9
	s_delay_alu instid0(VALU_DEP_3) | instskip(SKIP_1) | instid1(VALU_DEP_3)
	v_cndmask_b32_e32 v1, v7, v1, vcc_lo
	v_cmp_gt_f64_e32 vcc_lo, 0, v[8:9]
	v_dual_cndmask_b32 v11, v9, v10 :: v_dual_mov_b32 v10, v8
	s_delay_alu instid0(VALU_DEP_1)
	v_cmpx_ngt_f64_e32 v[0:1], v[10:11]
	s_xor_b32 s2, exec_lo, s2
	s_cbranch_execz .LBB39_32
; %bb.29:
	v_mov_b64_e32 v[12:13], 0
	s_mov_b32 s5, exec_lo
	v_cmpx_neq_f64_e32 0, v[8:9]
	s_cbranch_execz .LBB39_31
; %bb.30:
	v_div_scale_f64 v[12:13], null, v[10:11], v[10:11], v[0:1]
	v_div_scale_f64 v[26:27], vcc_lo, v[0:1], v[10:11], v[0:1]
	s_delay_alu instid0(VALU_DEP_2) | instskip(SKIP_1) | instid1(TRANS32_DEP_1)
	v_rcp_f64_e32 v[20:21], v[12:13]
	v_nop
	v_fma_f64 v[22:23], -v[12:13], v[20:21], 1.0
	s_delay_alu instid0(VALU_DEP_1) | instskip(NEXT) | instid1(VALU_DEP_1)
	v_fmac_f64_e32 v[20:21], v[20:21], v[22:23]
	v_fma_f64 v[22:23], -v[12:13], v[20:21], 1.0
	s_delay_alu instid0(VALU_DEP_1) | instskip(NEXT) | instid1(VALU_DEP_1)
	v_fmac_f64_e32 v[20:21], v[20:21], v[22:23]
	v_mul_f64_e32 v[22:23], v[26:27], v[20:21]
	s_delay_alu instid0(VALU_DEP_1) | instskip(NEXT) | instid1(VALU_DEP_1)
	v_fma_f64 v[12:13], -v[12:13], v[22:23], v[26:27]
	v_div_fmas_f64 v[12:13], v[12:13], v[20:21], v[22:23]
	s_delay_alu instid0(VALU_DEP_1) | instskip(NEXT) | instid1(VALU_DEP_1)
	v_div_fixup_f64 v[0:1], v[12:13], v[10:11], v[0:1]
	v_fma_f64 v[0:1], v[0:1], v[0:1], 1.0
	s_delay_alu instid0(VALU_DEP_1) | instskip(SKIP_1) | instid1(VALU_DEP_1)
	v_cmp_gt_f64_e32 vcc_lo, 0x10000000, v[0:1]
	v_cndmask_b32_e64 v12, 0, 0x100, vcc_lo
	v_ldexp_f64 v[0:1], v[0:1], v12
	s_delay_alu instid0(VALU_DEP_1) | instskip(SKIP_1) | instid1(TRANS32_DEP_1)
	v_rsq_f64_e32 v[12:13], v[0:1]
	v_nop
	v_mul_f64_e32 v[20:21], v[0:1], v[12:13]
	v_mul_f64_e32 v[12:13], 0.5, v[12:13]
	s_delay_alu instid0(VALU_DEP_1) | instskip(NEXT) | instid1(VALU_DEP_1)
	v_fma_f64 v[22:23], -v[12:13], v[20:21], 0.5
	v_fmac_f64_e32 v[20:21], v[20:21], v[22:23]
	v_fmac_f64_e32 v[12:13], v[12:13], v[22:23]
	s_delay_alu instid0(VALU_DEP_2) | instskip(NEXT) | instid1(VALU_DEP_1)
	v_fma_f64 v[22:23], -v[20:21], v[20:21], v[0:1]
	v_fmac_f64_e32 v[20:21], v[22:23], v[12:13]
	s_delay_alu instid0(VALU_DEP_1) | instskip(NEXT) | instid1(VALU_DEP_1)
	v_fma_f64 v[22:23], -v[20:21], v[20:21], v[0:1]
	v_fmac_f64_e32 v[20:21], v[22:23], v[12:13]
	v_cndmask_b32_e64 v12, 0, 0xffffff80, vcc_lo
	v_cmp_class_f64_e64 vcc_lo, v[0:1], 0x260
	s_delay_alu instid0(VALU_DEP_2) | instskip(NEXT) | instid1(VALU_DEP_1)
	v_ldexp_f64 v[12:13], v[20:21], v12
	v_dual_cndmask_b32 v1, v13, v1 :: v_dual_cndmask_b32 v0, v12, v0
	s_delay_alu instid0(VALU_DEP_1)
	v_mul_f64_e32 v[12:13], v[10:11], v[0:1]
.LBB39_31:
	s_or_b32 exec_lo, exec_lo, s5
                                        ; implicit-def: $vgpr0_vgpr1
                                        ; implicit-def: $vgpr10_vgpr11
.LBB39_32:
	s_and_not1_saveexec_b32 s2, s2
	s_cbranch_execz .LBB39_34
; %bb.33:
	v_div_scale_f64 v[12:13], null, v[0:1], v[0:1], v[10:11]
	v_div_scale_f64 v[26:27], vcc_lo, v[10:11], v[0:1], v[10:11]
	s_delay_alu instid0(VALU_DEP_2) | instskip(SKIP_1) | instid1(TRANS32_DEP_1)
	v_rcp_f64_e32 v[20:21], v[12:13]
	v_nop
	v_fma_f64 v[22:23], -v[12:13], v[20:21], 1.0
	s_delay_alu instid0(VALU_DEP_1) | instskip(NEXT) | instid1(VALU_DEP_1)
	v_fmac_f64_e32 v[20:21], v[20:21], v[22:23]
	v_fma_f64 v[22:23], -v[12:13], v[20:21], 1.0
	s_delay_alu instid0(VALU_DEP_1) | instskip(NEXT) | instid1(VALU_DEP_1)
	v_fmac_f64_e32 v[20:21], v[20:21], v[22:23]
	v_mul_f64_e32 v[22:23], v[26:27], v[20:21]
	s_delay_alu instid0(VALU_DEP_1) | instskip(NEXT) | instid1(VALU_DEP_1)
	v_fma_f64 v[12:13], -v[12:13], v[22:23], v[26:27]
	v_div_fmas_f64 v[12:13], v[12:13], v[20:21], v[22:23]
	s_delay_alu instid0(VALU_DEP_1) | instskip(NEXT) | instid1(VALU_DEP_1)
	v_div_fixup_f64 v[10:11], v[12:13], v[0:1], v[10:11]
	v_fma_f64 v[10:11], v[10:11], v[10:11], 1.0
	s_delay_alu instid0(VALU_DEP_1) | instskip(SKIP_1) | instid1(VALU_DEP_1)
	v_cmp_gt_f64_e32 vcc_lo, 0x10000000, v[10:11]
	v_cndmask_b32_e64 v12, 0, 0x100, vcc_lo
	v_ldexp_f64 v[10:11], v[10:11], v12
	s_delay_alu instid0(VALU_DEP_1) | instskip(SKIP_1) | instid1(TRANS32_DEP_1)
	v_rsq_f64_e32 v[12:13], v[10:11]
	v_nop
	v_mul_f64_e32 v[20:21], v[10:11], v[12:13]
	v_mul_f64_e32 v[12:13], 0.5, v[12:13]
	s_delay_alu instid0(VALU_DEP_1) | instskip(NEXT) | instid1(VALU_DEP_1)
	v_fma_f64 v[22:23], -v[12:13], v[20:21], 0.5
	v_fmac_f64_e32 v[20:21], v[20:21], v[22:23]
	v_fmac_f64_e32 v[12:13], v[12:13], v[22:23]
	s_delay_alu instid0(VALU_DEP_2) | instskip(NEXT) | instid1(VALU_DEP_1)
	v_fma_f64 v[22:23], -v[20:21], v[20:21], v[10:11]
	v_fmac_f64_e32 v[20:21], v[22:23], v[12:13]
	s_delay_alu instid0(VALU_DEP_1) | instskip(NEXT) | instid1(VALU_DEP_1)
	v_fma_f64 v[22:23], -v[20:21], v[20:21], v[10:11]
	v_fmac_f64_e32 v[20:21], v[22:23], v[12:13]
	v_cndmask_b32_e64 v12, 0, 0xffffff80, vcc_lo
	v_cmp_class_f64_e64 vcc_lo, v[10:11], 0x260
	s_delay_alu instid0(VALU_DEP_2) | instskip(NEXT) | instid1(VALU_DEP_1)
	v_ldexp_f64 v[12:13], v[20:21], v12
	v_dual_cndmask_b32 v11, v13, v11 :: v_dual_cndmask_b32 v10, v12, v10
	s_delay_alu instid0(VALU_DEP_1)
	v_mul_f64_e32 v[12:13], v[0:1], v[10:11]
.LBB39_34:
	s_or_b32 exec_lo, exec_lo, s2
	v_cmp_ne_u32_e32 vcc_lo, 1, v19
	v_cmp_eq_u32_e64 s2, 0, v24
	s_mov_b32 s5, -1
	s_cbranch_vccnz .LBB39_38
; %bb.35:
	v_cvt_f64_f32_e32 v[0:1], s3
	s_cmp_eq_u64 s[20:21], 8
	s_cselect_b32 vcc_lo, -1, 0
	s_delay_alu instid0(VALU_DEP_1) | instskip(NEXT) | instid1(VALU_DEP_1)
	v_dual_cndmask_b32 v1, v1, v17 :: v_dual_cndmask_b32 v0, v0, v16
	v_cmp_le_f64_e32 vcc_lo, v[12:13], v[0:1]
	s_and_b32 s5, s2, vcc_lo
	s_delay_alu instid0(SALU_CYCLE_1)
	s_and_saveexec_b32 s3, s5
	s_cbranch_execz .LBB39_37
; %bb.36:
	v_mov_b32_e32 v19, 0
	s_delay_alu instid0(VALU_DEP_1)
	v_lshl_add_u64 v[0:1], v[18:19], 4, s[8:9]
	global_store_b128 v[0:1], v[2:5], off
.LBB39_37:
	s_wait_xcnt 0x0
	s_or_b32 exec_lo, exec_lo, s3
	s_mov_b32 s5, 0
.LBB39_38:
	s_delay_alu instid0(SALU_CYCLE_1)
	s_and_not1_b32 vcc_lo, exec_lo, s5
	s_cbranch_vccnz .LBB39_49
; %bb.39:
	s_load_b64 s[0:1], s[0:1], 0x48
	v_add_nc_u32_e32 v0, s28, v14
	s_wait_kmcnt 0x0
	v_cmp_ge_f64_e32 vcc_lo, s[0:1], v[12:13]
	s_and_b32 s1, s2, vcc_lo
	s_delay_alu instid0(SALU_CYCLE_1)
	s_and_saveexec_b32 s0, s1
	s_cbranch_execz .LBB39_44
; %bb.40:
	s_mov_b32 s3, exec_lo
	s_brev_b32 s1, -2
.LBB39_41:                              ; =>This Inner Loop Header: Depth=1
	s_ctz_i32_b32 s5, s3
	s_delay_alu instid0(SALU_CYCLE_1) | instskip(SKIP_1) | instid1(SALU_CYCLE_1)
	v_readlane_b32 s6, v0, s5
	s_lshl_b32 s5, 1, s5
	s_and_not1_b32 s3, s3, s5
	s_min_i32 s1, s1, s6
	s_cmp_lg_u32 s3, 0
	s_cbranch_scc1 .LBB39_41
; %bb.42:
	v_mbcnt_lo_u32_b32 v1, exec_lo, 0
	s_mov_b32 s3, exec_lo
	s_delay_alu instid0(VALU_DEP_1)
	v_cmpx_eq_u32_e32 0, v1
	s_xor_b32 s3, exec_lo, s3
	s_cbranch_execz .LBB39_44
; %bb.43:
	v_dual_mov_b32 v1, 0 :: v_dual_mov_b32 v2, s1
	global_atomic_min_i32 v1, v2, s[18:19] scope:SCOPE_DEV
.LBB39_44:
	s_wait_xcnt 0x0
	s_or_b32 exec_lo, exec_lo, s0
	v_cmp_eq_f64_e32 vcc_lo, 0, v[6:7]
	v_cmp_eq_f64_e64 s0, 0, v[8:9]
	s_and_b32 s0, vcc_lo, s0
	s_delay_alu instid0(SALU_CYCLE_1) | instskip(NEXT) | instid1(SALU_CYCLE_1)
	s_and_b32 s0, s2, s0
	s_and_b32 exec_lo, exec_lo, s0
	s_cbranch_execz .LBB39_49
; %bb.45:
	s_mov_b32 s1, exec_lo
	s_brev_b32 s0, -2
.LBB39_46:                              ; =>This Inner Loop Header: Depth=1
	s_ctz_i32_b32 s2, s1
	s_delay_alu instid0(SALU_CYCLE_1) | instskip(SKIP_1) | instid1(SALU_CYCLE_1)
	v_readlane_b32 s3, v0, s2
	s_lshl_b32 s2, 1, s2
	s_and_not1_b32 s1, s1, s2
	s_min_i32 s0, s0, s3
	s_cmp_lg_u32 s1, 0
	s_cbranch_scc1 .LBB39_46
; %bb.47:
	v_mbcnt_lo_u32_b32 v0, exec_lo, 0
	s_mov_b32 s1, exec_lo
	s_delay_alu instid0(VALU_DEP_1)
	v_cmpx_eq_u32_e32 0, v0
	s_xor_b32 s1, exec_lo, s1
	s_cbranch_execz .LBB39_49
; %bb.48:
	v_dual_mov_b32 v0, 0 :: v_dual_mov_b32 v1, s0
	global_atomic_min_i32 v0, v1, s[16:17] scope:SCOPE_DEV
.LBB39_49:
	s_wait_xcnt 0x0
	s_or_b32 exec_lo, exec_lo, s4
	v_cmp_eq_u32_e32 vcc_lo, 0, v24
	global_wb scope:SCOPE_DEV
	s_wait_storecnt 0x0
	global_inv scope:SCOPE_DEV
	s_and_b32 exec_lo, exec_lo, vcc_lo
	s_cbranch_execz .LBB39_51
; %bb.50:
	v_lshl_add_u64 v[0:1], v[14:15], 2, s[12:13]
	v_mov_b32_e32 v2, 1
	global_wb scope:SCOPE_DEV
	s_wait_loadcnt 0x0
	s_wait_storecnt 0x0
	global_store_b32 v[0:1], v2, off scope:SCOPE_DEV
.LBB39_51:
	s_endpgm
	.section	.rodata,"a",@progbits
	.p2align	6, 0x0
	.amdhsa_kernel _ZN9rocsparseL17csrilu0_binsearchILj256ELj64ELb1E21rocsparse_complex_numIdEEEviPKiS4_PT2_S4_PiS4_S7_S7_d21rocsparse_index_base_imNS_24const_host_device_scalarIfEENS9_IdEENS9_IS5_EEb
		.amdhsa_group_segment_fixed_size 0
		.amdhsa_private_segment_fixed_size 16
		.amdhsa_kernarg_size 132
		.amdhsa_user_sgpr_count 2
		.amdhsa_user_sgpr_dispatch_ptr 0
		.amdhsa_user_sgpr_queue_ptr 0
		.amdhsa_user_sgpr_kernarg_segment_ptr 1
		.amdhsa_user_sgpr_dispatch_id 0
		.amdhsa_user_sgpr_kernarg_preload_length 0
		.amdhsa_user_sgpr_kernarg_preload_offset 0
		.amdhsa_user_sgpr_private_segment_size 0
		.amdhsa_wavefront_size32 1
		.amdhsa_uses_dynamic_stack 0
		.amdhsa_enable_private_segment 1
		.amdhsa_system_sgpr_workgroup_id_x 1
		.amdhsa_system_sgpr_workgroup_id_y 0
		.amdhsa_system_sgpr_workgroup_id_z 0
		.amdhsa_system_sgpr_workgroup_info 0
		.amdhsa_system_vgpr_workitem_id 0
		.amdhsa_next_free_vgpr 38
		.amdhsa_next_free_sgpr 30
		.amdhsa_named_barrier_count 0
		.amdhsa_reserve_vcc 1
		.amdhsa_float_round_mode_32 0
		.amdhsa_float_round_mode_16_64 0
		.amdhsa_float_denorm_mode_32 3
		.amdhsa_float_denorm_mode_16_64 3
		.amdhsa_fp16_overflow 0
		.amdhsa_memory_ordered 1
		.amdhsa_forward_progress 1
		.amdhsa_inst_pref_size 20
		.amdhsa_round_robin_scheduling 0
		.amdhsa_exception_fp_ieee_invalid_op 0
		.amdhsa_exception_fp_denorm_src 0
		.amdhsa_exception_fp_ieee_div_zero 0
		.amdhsa_exception_fp_ieee_overflow 0
		.amdhsa_exception_fp_ieee_underflow 0
		.amdhsa_exception_fp_ieee_inexact 0
		.amdhsa_exception_int_div_zero 0
	.end_amdhsa_kernel
	.section	.text._ZN9rocsparseL17csrilu0_binsearchILj256ELj64ELb1E21rocsparse_complex_numIdEEEviPKiS4_PT2_S4_PiS4_S7_S7_d21rocsparse_index_base_imNS_24const_host_device_scalarIfEENS9_IdEENS9_IS5_EEb,"axG",@progbits,_ZN9rocsparseL17csrilu0_binsearchILj256ELj64ELb1E21rocsparse_complex_numIdEEEviPKiS4_PT2_S4_PiS4_S7_S7_d21rocsparse_index_base_imNS_24const_host_device_scalarIfEENS9_IdEENS9_IS5_EEb,comdat
.Lfunc_end39:
	.size	_ZN9rocsparseL17csrilu0_binsearchILj256ELj64ELb1E21rocsparse_complex_numIdEEEviPKiS4_PT2_S4_PiS4_S7_S7_d21rocsparse_index_base_imNS_24const_host_device_scalarIfEENS9_IdEENS9_IS5_EEb, .Lfunc_end39-_ZN9rocsparseL17csrilu0_binsearchILj256ELj64ELb1E21rocsparse_complex_numIdEEEviPKiS4_PT2_S4_PiS4_S7_S7_d21rocsparse_index_base_imNS_24const_host_device_scalarIfEENS9_IdEENS9_IS5_EEb
                                        ; -- End function
	.set _ZN9rocsparseL17csrilu0_binsearchILj256ELj64ELb1E21rocsparse_complex_numIdEEEviPKiS4_PT2_S4_PiS4_S7_S7_d21rocsparse_index_base_imNS_24const_host_device_scalarIfEENS9_IdEENS9_IS5_EEb.num_vgpr, 38
	.set _ZN9rocsparseL17csrilu0_binsearchILj256ELj64ELb1E21rocsparse_complex_numIdEEEviPKiS4_PT2_S4_PiS4_S7_S7_d21rocsparse_index_base_imNS_24const_host_device_scalarIfEENS9_IdEENS9_IS5_EEb.num_agpr, 0
	.set _ZN9rocsparseL17csrilu0_binsearchILj256ELj64ELb1E21rocsparse_complex_numIdEEEviPKiS4_PT2_S4_PiS4_S7_S7_d21rocsparse_index_base_imNS_24const_host_device_scalarIfEENS9_IdEENS9_IS5_EEb.numbered_sgpr, 30
	.set _ZN9rocsparseL17csrilu0_binsearchILj256ELj64ELb1E21rocsparse_complex_numIdEEEviPKiS4_PT2_S4_PiS4_S7_S7_d21rocsparse_index_base_imNS_24const_host_device_scalarIfEENS9_IdEENS9_IS5_EEb.num_named_barrier, 0
	.set _ZN9rocsparseL17csrilu0_binsearchILj256ELj64ELb1E21rocsparse_complex_numIdEEEviPKiS4_PT2_S4_PiS4_S7_S7_d21rocsparse_index_base_imNS_24const_host_device_scalarIfEENS9_IdEENS9_IS5_EEb.private_seg_size, 16
	.set _ZN9rocsparseL17csrilu0_binsearchILj256ELj64ELb1E21rocsparse_complex_numIdEEEviPKiS4_PT2_S4_PiS4_S7_S7_d21rocsparse_index_base_imNS_24const_host_device_scalarIfEENS9_IdEENS9_IS5_EEb.uses_vcc, 1
	.set _ZN9rocsparseL17csrilu0_binsearchILj256ELj64ELb1E21rocsparse_complex_numIdEEEviPKiS4_PT2_S4_PiS4_S7_S7_d21rocsparse_index_base_imNS_24const_host_device_scalarIfEENS9_IdEENS9_IS5_EEb.uses_flat_scratch, 0
	.set _ZN9rocsparseL17csrilu0_binsearchILj256ELj64ELb1E21rocsparse_complex_numIdEEEviPKiS4_PT2_S4_PiS4_S7_S7_d21rocsparse_index_base_imNS_24const_host_device_scalarIfEENS9_IdEENS9_IS5_EEb.has_dyn_sized_stack, 0
	.set _ZN9rocsparseL17csrilu0_binsearchILj256ELj64ELb1E21rocsparse_complex_numIdEEEviPKiS4_PT2_S4_PiS4_S7_S7_d21rocsparse_index_base_imNS_24const_host_device_scalarIfEENS9_IdEENS9_IS5_EEb.has_recursion, 0
	.set _ZN9rocsparseL17csrilu0_binsearchILj256ELj64ELb1E21rocsparse_complex_numIdEEEviPKiS4_PT2_S4_PiS4_S7_S7_d21rocsparse_index_base_imNS_24const_host_device_scalarIfEENS9_IdEENS9_IS5_EEb.has_indirect_call, 0
	.section	.AMDGPU.csdata,"",@progbits
; Kernel info:
; codeLenInByte = 2488
; TotalNumSgprs: 32
; NumVgprs: 38
; ScratchSize: 16
; MemoryBound: 0
; FloatMode: 240
; IeeeMode: 1
; LDSByteSize: 0 bytes/workgroup (compile time only)
; SGPRBlocks: 0
; VGPRBlocks: 2
; NumSGPRsForWavesPerEU: 32
; NumVGPRsForWavesPerEU: 38
; NamedBarCnt: 0
; Occupancy: 16
; WaveLimiterHint : 1
; COMPUTE_PGM_RSRC2:SCRATCH_EN: 1
; COMPUTE_PGM_RSRC2:USER_SGPR: 2
; COMPUTE_PGM_RSRC2:TRAP_HANDLER: 0
; COMPUTE_PGM_RSRC2:TGID_X_EN: 1
; COMPUTE_PGM_RSRC2:TGID_Y_EN: 0
; COMPUTE_PGM_RSRC2:TGID_Z_EN: 0
; COMPUTE_PGM_RSRC2:TIDIG_COMP_CNT: 0
	.section	.text._ZN9rocsparseL12csrilu0_hashILj256ELj32ELj1E21rocsparse_complex_numIdEEEviPKiS4_PT2_S4_PiS4_S7_S7_d21rocsparse_index_base_imNS_24const_host_device_scalarIfEENS9_IdEENS9_IS5_EEb,"axG",@progbits,_ZN9rocsparseL12csrilu0_hashILj256ELj32ELj1E21rocsparse_complex_numIdEEEviPKiS4_PT2_S4_PiS4_S7_S7_d21rocsparse_index_base_imNS_24const_host_device_scalarIfEENS9_IdEENS9_IS5_EEb,comdat
	.globl	_ZN9rocsparseL12csrilu0_hashILj256ELj32ELj1E21rocsparse_complex_numIdEEEviPKiS4_PT2_S4_PiS4_S7_S7_d21rocsparse_index_base_imNS_24const_host_device_scalarIfEENS9_IdEENS9_IS5_EEb ; -- Begin function _ZN9rocsparseL12csrilu0_hashILj256ELj32ELj1E21rocsparse_complex_numIdEEEviPKiS4_PT2_S4_PiS4_S7_S7_d21rocsparse_index_base_imNS_24const_host_device_scalarIfEENS9_IdEENS9_IS5_EEb
	.p2align	8
	.type	_ZN9rocsparseL12csrilu0_hashILj256ELj32ELj1E21rocsparse_complex_numIdEEEviPKiS4_PT2_S4_PiS4_S7_S7_d21rocsparse_index_base_imNS_24const_host_device_scalarIfEENS9_IdEENS9_IS5_EEb,@function
_ZN9rocsparseL12csrilu0_hashILj256ELj32ELj1E21rocsparse_complex_numIdEEEviPKiS4_PT2_S4_PiS4_S7_S7_d21rocsparse_index_base_imNS_24const_host_device_scalarIfEENS9_IdEENS9_IS5_EEb: ; @_ZN9rocsparseL12csrilu0_hashILj256ELj32ELj1E21rocsparse_complex_numIdEEEviPKiS4_PT2_S4_PiS4_S7_S7_d21rocsparse_index_base_imNS_24const_host_device_scalarIfEENS9_IdEENS9_IS5_EEb
; %bb.0:
	s_clause 0x2
	s_load_b96 s[4:6], s[0:1], 0x78
	s_load_b64 s[28:29], s[0:1], 0x50
	s_load_b256 s[20:27], s[0:1], 0x58
	s_wait_kmcnt 0x0
	s_bitcmp1_b32 s6, 0
	s_cselect_b32 s2, -1, 0
	s_cmp_eq_u32 s29, 0
	v_mov_b64_e32 v[2:3], s[26:27]
	s_cselect_b32 s3, -1, 0
	s_cmp_lg_u32 s29, 0
	s_cselect_b32 s8, -1, 0
	s_or_b32 s10, s3, s2
	s_delay_alu instid0(SALU_CYCLE_1)
	s_xor_b32 s9, s10, -1
	s_and_b32 s3, s3, exec_lo
	s_cselect_b32 s7, 0, s25
	s_cselect_b32 s6, 0, s24
	;; [unrolled: 1-line block ×3, first 2 shown]
	s_and_b32 vcc_lo, exec_lo, s10
	scratch_store_b64 off, v[2:3], off
	s_cbranch_vccnz .LBB40_2
; %bb.1:
	s_load_b32 s3, s[22:23], 0x0
	s_mov_b64 s[6:7], s[24:25]
.LBB40_2:
	s_delay_alu instid0(SALU_CYCLE_1)
	v_mov_b64_e32 v[14:15], s[6:7]
	s_and_not1_b32 vcc_lo, exec_lo, s9
	s_cbranch_vccnz .LBB40_4
; %bb.3:
	v_mov_b32_e32 v1, 0
	flat_load_b64 v[14:15], v1, s[24:25]
.LBB40_4:
	v_mov_b64_e32 v[4:5], 0
	s_wait_xcnt 0x0
	v_mov_b64_e32 v[2:3], 0
	v_cndmask_b32_e64 v17, 0, 1, s8
	s_and_not1_b32 vcc_lo, exec_lo, s8
	s_cbranch_vccnz .LBB40_7
; %bb.5:
	v_mbcnt_lo_u32_b32 v1, -1, 0
	v_mov_b32_e32 v2, 0
	v_mov_b64_e32 v[4:5], s[4:5]
	s_delay_alu instid0(VALU_DEP_3) | instskip(NEXT) | instid1(VALU_DEP_1)
	v_lshlrev_b32_e32 v3, 20, v1
	v_add_nc_u64_e32 v[2:3], src_flat_scratch_base_lo, v[2:3]
	s_delay_alu instid0(VALU_DEP_1) | instskip(NEXT) | instid1(VALU_DEP_2)
	v_cndmask_b32_e64 v3, s27, v3, s2
	v_cndmask_b32_e64 v2, s26, v2, s2
	s_xor_b32 s2, s2, -1
	s_delay_alu instid0(SALU_CYCLE_1)
	s_and_not1_b32 vcc_lo, exec_lo, s2
	flat_load_b64 v[2:3], v[2:3]
	s_cbranch_vccnz .LBB40_7
; %bb.6:
	v_mov_b32_e32 v1, 0
	flat_load_b64 v[4:5], v1, s[26:27] offset:8
.LBB40_7:
	s_load_b32 s2, s[0:1], 0x0
	s_bfe_u32 s4, ttmp6, 0x4000c
	s_and_b32 s5, ttmp6, 15
	s_add_co_i32 s4, s4, 1
	s_getreg_b32 s6, hwreg(HW_REG_IB_STS2, 6, 4)
	s_mul_i32 s4, ttmp9, s4
	v_and_b32_e32 v22, 31, v0
	s_add_co_i32 s5, s5, s4
	s_cmp_eq_u32 s6, 0
	v_and_b32_e32 v8, 0xe0, v0
	v_lshrrev_b32_e32 v0, 5, v0
	s_cselect_b32 s4, ttmp9, s5
	v_mov_b32_e32 v6, -1
	s_lshl_b32 s4, s4, 3
	v_lshl_or_b32 v23, v8, 2, 0x400
	v_and_or_b32 v0, 0x7fffff8, s4, v0
	s_delay_alu instid0(VALU_DEP_2) | instskip(SKIP_1) | instid1(VALU_DEP_2)
	v_lshl_or_b32 v1, v22, 2, v23
	s_wait_kmcnt 0x0
	v_cmp_gt_i32_e32 vcc_lo, s2, v0
	ds_store_b32 v1, v6
	s_wait_storecnt 0x0
	s_wait_loadcnt_dscnt 0x0
	s_and_saveexec_b32 s2, vcc_lo
	s_cbranch_execz .LBB40_85
; %bb.8:
	s_load_b512 s[4:19], s[0:1], 0x8
	v_lshlrev_b32_e32 v24, 2, v8
	s_mov_b32 s2, exec_lo
	s_wait_kmcnt 0x0
	global_load_b32 v0, v0, s[14:15] scale_offset
	s_wait_loadcnt 0x0
	v_ashrrev_i32_e32 v1, 31, v0
	s_delay_alu instid0(VALU_DEP_1)
	v_lshl_add_u64 v[6:7], v[0:1], 2, s[4:5]
	global_load_b64 v[10:11], v[6:7], off
	global_load_b32 v16, v0, s[10:11] scale_offset
	s_wait_loadcnt 0x1
	v_subrev_nc_u32_e32 v18, s28, v10
	v_subrev_nc_u32_e32 v6, s28, v11
	s_delay_alu instid0(VALU_DEP_2) | instskip(SKIP_1) | instid1(VALU_DEP_1)
	v_add_nc_u32_e32 v7, v18, v22
	s_wait_xcnt 0x0
	v_cmpx_lt_i32_e64 v7, v6
	s_cbranch_execz .LBB40_31
; %bb.9:
	v_mov_b32_e32 v8, -1
	s_mov_b32 s14, 0
	s_branch .LBB40_11
.LBB40_10:                              ;   in Loop: Header=BB40_11 Depth=1
	s_or_b32 exec_lo, exec_lo, s15
	v_add_nc_u32_e32 v7, 32, v7
	s_delay_alu instid0(VALU_DEP_1) | instskip(SKIP_1) | instid1(SALU_CYCLE_1)
	v_cmp_ge_i32_e32 vcc_lo, v7, v6
	s_or_b32 s14, vcc_lo, s14
	s_and_not1_b32 exec_lo, exec_lo, s14
	s_cbranch_execz .LBB40_31
.LBB40_11:                              ; =>This Loop Header: Depth=1
                                        ;     Child Loop BB40_20 Depth 2
	global_load_b32 v9, v7, s[6:7] scale_offset
	v_mov_b32_e32 v10, 32
	s_mov_b32 s15, 0
                                        ; implicit-def: $sgpr22
                                        ; implicit-def: $sgpr23
                                        ; implicit-def: $sgpr24
	s_wait_loadcnt 0x0
	v_mul_lo_u32 v12, v9, 7
	s_branch .LBB40_20
.LBB40_12:                              ;   in Loop: Header=BB40_20 Depth=2
	s_or_b32 exec_lo, exec_lo, s36
	s_delay_alu instid0(SALU_CYCLE_1)
	s_or_not1_b32 s34, s34, exec_lo
	s_or_not1_b32 s35, s35, exec_lo
.LBB40_13:                              ;   in Loop: Header=BB40_20 Depth=2
	s_or_b32 exec_lo, exec_lo, s33
	s_delay_alu instid0(SALU_CYCLE_1)
	s_and_b32 s34, s34, exec_lo
	s_or_not1_b32 s33, s35, exec_lo
.LBB40_14:                              ;   in Loop: Header=BB40_20 Depth=2
	s_or_b32 exec_lo, exec_lo, s31
	s_delay_alu instid0(SALU_CYCLE_1)
	s_or_not1_b32 s31, s34, exec_lo
	s_or_not1_b32 s33, s33, exec_lo
.LBB40_15:                              ;   in Loop: Header=BB40_20 Depth=2
	s_or_b32 exec_lo, exec_lo, s30
	s_delay_alu instid0(SALU_CYCLE_1)
	s_and_b32 s31, s31, exec_lo
	s_or_not1_b32 s30, s33, exec_lo
.LBB40_16:                              ;   in Loop: Header=BB40_20 Depth=2
	s_or_b32 exec_lo, exec_lo, s29
	s_delay_alu instid0(SALU_CYCLE_1)
	s_or_not1_b32 s29, s31, exec_lo
	s_or_not1_b32 s30, s30, exec_lo
.LBB40_17:                              ;   in Loop: Header=BB40_20 Depth=2
	s_or_b32 exec_lo, exec_lo, s27
	s_delay_alu instid0(SALU_CYCLE_1)
	s_and_b32 s29, s29, exec_lo
	s_or_not1_b32 s27, s30, exec_lo
.LBB40_18:                              ;   in Loop: Header=BB40_20 Depth=2
	s_or_b32 exec_lo, exec_lo, s26
	s_delay_alu instid0(SALU_CYCLE_1)
	s_and_not1_b32 s24, s24, exec_lo
	s_and_b32 s26, s29, exec_lo
	s_and_not1_b32 s23, s23, exec_lo
	s_and_b32 s27, s27, exec_lo
	s_or_b32 s24, s24, s26
	s_or_b32 s23, s23, s27
.LBB40_19:                              ;   in Loop: Header=BB40_20 Depth=2
	s_or_b32 exec_lo, exec_lo, s25
	s_delay_alu instid0(SALU_CYCLE_1) | instskip(NEXT) | instid1(SALU_CYCLE_1)
	s_and_b32 s25, exec_lo, s23
	s_or_b32 s15, s25, s15
	s_and_not1_b32 s22, s22, exec_lo
	s_and_b32 s25, s24, exec_lo
	s_delay_alu instid0(SALU_CYCLE_1)
	s_or_b32 s22, s22, s25
	s_and_not1_b32 exec_lo, exec_lo, s15
	s_cbranch_execz .LBB40_29
.LBB40_20:                              ;   Parent Loop BB40_11 Depth=1
                                        ; =>  This Inner Loop Header: Depth=2
	s_delay_alu instid0(VALU_DEP_1) | instskip(SKIP_3) | instid1(VALU_DEP_1)
	v_and_b32_e32 v11, 31, v12
	s_or_b32 s24, s24, exec_lo
	s_or_b32 s23, s23, exec_lo
	s_mov_b32 s25, exec_lo
	v_lshl_add_u32 v13, v11, 2, v23
	ds_load_b32 v19, v13
	s_wait_dscnt 0x0
	s_wait_xcnt 0x0
	v_cmpx_ne_u32_e64 v19, v9
	s_cbranch_execz .LBB40_19
; %bb.21:                               ;   in Loop: Header=BB40_20 Depth=2
	ds_cmpstore_rtn_b32 v13, v13, v9, v8
	s_mov_b32 s27, -1
	s_mov_b32 s29, 0
	s_mov_b32 s26, exec_lo
	s_wait_dscnt 0x0
	v_cmpx_ne_u32_e32 -1, v13
	s_cbranch_execz .LBB40_18
; %bb.22:                               ;   in Loop: Header=BB40_20 Depth=2
	v_add_nc_u32_e32 v11, 1, v12
	s_mov_b32 s30, -1
	s_mov_b32 s29, -1
	s_mov_b32 s27, exec_lo
	s_delay_alu instid0(VALU_DEP_1) | instskip(NEXT) | instid1(VALU_DEP_1)
	v_and_b32_e32 v11, 31, v11
	v_lshl_add_u32 v13, v11, 2, v23
	ds_load_b32 v19, v13
	s_wait_dscnt 0x0
	v_cmpx_ne_u32_e64 v19, v9
	s_cbranch_execz .LBB40_17
; %bb.23:                               ;   in Loop: Header=BB40_20 Depth=2
	ds_cmpstore_rtn_b32 v13, v13, v9, v8
	s_mov_b32 s31, 0
	s_mov_b32 s29, exec_lo
	s_wait_dscnt 0x0
	v_cmpx_ne_u32_e32 -1, v13
	s_cbranch_execz .LBB40_16
; %bb.24:                               ;   in Loop: Header=BB40_20 Depth=2
	v_add_nc_u32_e32 v11, 2, v12
	s_mov_b32 s33, -1
	s_mov_b32 s31, -1
	s_mov_b32 s30, exec_lo
	s_delay_alu instid0(VALU_DEP_1) | instskip(NEXT) | instid1(VALU_DEP_1)
	v_and_b32_e32 v11, 31, v11
	v_lshl_add_u32 v13, v11, 2, v23
	ds_load_b32 v19, v13
	s_wait_dscnt 0x0
	v_cmpx_ne_u32_e64 v19, v9
	s_cbranch_execz .LBB40_15
; %bb.25:                               ;   in Loop: Header=BB40_20 Depth=2
	ds_cmpstore_rtn_b32 v13, v13, v9, v8
	s_mov_b32 s34, 0
	s_mov_b32 s31, exec_lo
	s_wait_dscnt 0x0
	v_cmpx_ne_u32_e32 -1, v13
	s_cbranch_execz .LBB40_14
; %bb.26:                               ;   in Loop: Header=BB40_20 Depth=2
	v_add_nc_u32_e32 v11, 3, v12
	s_mov_b32 s35, -1
	s_mov_b32 s34, -1
	s_delay_alu instid0(VALU_DEP_1) | instskip(NEXT) | instid1(VALU_DEP_1)
	v_and_b32_e32 v11, 31, v11
	v_lshl_add_u32 v13, v11, 2, v23
	ds_load_b32 v12, v13
	s_wait_dscnt 0x0
	v_cmp_ne_u32_e32 vcc_lo, v12, v9
                                        ; implicit-def: $vgpr12
	s_and_saveexec_b32 s33, vcc_lo
	s_cbranch_execz .LBB40_13
; %bb.27:                               ;   in Loop: Header=BB40_20 Depth=2
	ds_cmpstore_rtn_b32 v12, v13, v9, v8
	s_mov_b32 s34, 0
	s_wait_dscnt 0x0
	v_cmp_ne_u32_e32 vcc_lo, -1, v12
                                        ; implicit-def: $vgpr12
	s_and_saveexec_b32 s36, vcc_lo
	s_cbranch_execz .LBB40_12
; %bb.28:                               ;   in Loop: Header=BB40_20 Depth=2
	v_dual_add_nc_u32 v10, -4, v10 :: v_dual_add_nc_u32 v12, 1, v11
	s_mov_b32 s34, exec_lo
	s_delay_alu instid0(VALU_DEP_1)
	v_cmp_eq_u32_e32 vcc_lo, 0, v10
	s_or_not1_b32 s35, vcc_lo, exec_lo
	s_branch .LBB40_12
.LBB40_29:                              ;   in Loop: Header=BB40_11 Depth=1
	s_or_b32 exec_lo, exec_lo, s15
	s_xor_b32 s15, s22, -1
	s_delay_alu instid0(SALU_CYCLE_1) | instskip(NEXT) | instid1(SALU_CYCLE_1)
	s_and_saveexec_b32 s22, s15
	s_xor_b32 s15, exec_lo, s22
	s_cbranch_execz .LBB40_10
; %bb.30:                               ;   in Loop: Header=BB40_11 Depth=1
	v_lshl_add_u32 v9, v11, 2, v24
	ds_store_b32 v9, v7
	s_branch .LBB40_10
.LBB40_31:
	s_or_b32 exec_lo, exec_lo, s2
	s_delay_alu instid0(SALU_CYCLE_1)
	s_mov_b32 s14, exec_lo
	s_wait_loadcnt_dscnt 0x0
	v_cmpx_lt_i32_e64 v18, v16
	s_cbranch_execz .LBB40_61
; %bb.32:
	v_add_nc_u32_e32 v25, 1, v22
	s_mov_b32 s15, 0
	s_branch .LBB40_35
.LBB40_33:                              ;   in Loop: Header=BB40_35 Depth=1
	s_or_b32 exec_lo, exec_lo, s22
	v_add_nc_u32_e32 v18, 1, v18
	s_delay_alu instid0(VALU_DEP_1)
	v_cmp_ge_i32_e32 vcc_lo, v18, v16
	s_or_not1_b32 s22, vcc_lo, exec_lo
.LBB40_34:                              ;   in Loop: Header=BB40_35 Depth=1
	s_or_b32 exec_lo, exec_lo, s2
	s_delay_alu instid0(SALU_CYCLE_1) | instskip(NEXT) | instid1(SALU_CYCLE_1)
	s_and_b32 s2, exec_lo, s22
	s_or_b32 s15, s2, s15
	s_delay_alu instid0(SALU_CYCLE_1)
	s_and_not1_b32 exec_lo, exec_lo, s15
	s_cbranch_execz .LBB40_61
.LBB40_35:                              ; =>This Loop Header: Depth=1
                                        ;     Child Loop BB40_36 Depth 2
                                        ;     Child Loop BB40_41 Depth 2
                                        ;       Child Loop BB40_50 Depth 3
	s_clause 0x1
	global_load_b32 v10, v18, s[6:7] scale_offset
	global_load_b128 v[6:9], v18, s[8:9] scale_offset
	v_ashrrev_i32_e32 v19, 31, v18
	s_mov_b32 s2, 0
	s_delay_alu instid0(VALU_DEP_1)
	v_lshl_add_u64 v[20:21], v[18:19], 4, s[8:9]
	s_wait_loadcnt 0x1
	v_subrev_nc_u32_e32 v10, s28, v10
	s_clause 0x1
	global_load_b32 v13, v10, s[4:5] offset:4 scale_offset
	global_load_b32 v12, v10, s[10:11] scale_offset
	v_ashrrev_i32_e32 v11, 31, v10
	s_wait_xcnt 0x0
	s_delay_alu instid0(VALU_DEP_1)
	v_lshl_add_u64 v[10:11], v[10:11], 2, s[12:13]
.LBB40_36:                              ;   Parent Loop BB40_35 Depth=1
                                        ; =>  This Inner Loop Header: Depth=2
	global_load_b32 v19, v[10:11], off scope:SCOPE_DEV
	s_wait_loadcnt 0x0
	v_cmp_ne_u32_e32 vcc_lo, 0, v19
	s_or_b32 s2, vcc_lo, s2
	s_wait_xcnt 0x0
	s_and_not1_b32 exec_lo, exec_lo, s2
	s_cbranch_execnz .LBB40_36
; %bb.37:                               ;   in Loop: Header=BB40_35 Depth=1
	s_or_b32 exec_lo, exec_lo, s2
	v_subrev_nc_u32_e32 v19, s28, v13
	v_cmp_eq_u32_e32 vcc_lo, -1, v12
	global_inv scope:SCOPE_DEV
	s_mov_b32 s22, -1
	v_add_nc_u32_e32 v10, -1, v19
	s_delay_alu instid0(VALU_DEP_1)
	v_cndmask_b32_e32 v26, v12, v10, vcc_lo
	global_load_b128 v[10:13], v26, s[8:9] scale_offset
	s_wait_loadcnt 0x0
	v_cmp_neq_f64_e32 vcc_lo, 0, v[10:11]
	v_cmp_neq_f64_e64 s2, 0, v[12:13]
	s_or_b32 s23, vcc_lo, s2
	s_wait_xcnt 0x0
	s_and_saveexec_b32 s2, s23
	s_cbranch_execz .LBB40_34
; %bb.38:                               ;   in Loop: Header=BB40_35 Depth=1
	v_mul_f64_e32 v[28:29], v[12:13], v[12:13]
	s_mov_b32 s22, exec_lo
	s_delay_alu instid0(VALU_DEP_1) | instskip(NEXT) | instid1(VALU_DEP_1)
	v_fmac_f64_e32 v[28:29], v[10:11], v[10:11]
	v_div_scale_f64 v[30:31], null, v[28:29], v[28:29], 1.0
	v_div_scale_f64 v[36:37], vcc_lo, 1.0, v[28:29], 1.0
	s_delay_alu instid0(VALU_DEP_2) | instskip(SKIP_1) | instid1(TRANS32_DEP_1)
	v_rcp_f64_e32 v[32:33], v[30:31]
	v_nop
	v_fma_f64 v[34:35], -v[30:31], v[32:33], 1.0
	s_delay_alu instid0(VALU_DEP_1) | instskip(NEXT) | instid1(VALU_DEP_1)
	v_fmac_f64_e32 v[32:33], v[32:33], v[34:35]
	v_fma_f64 v[34:35], -v[30:31], v[32:33], 1.0
	s_delay_alu instid0(VALU_DEP_1) | instskip(NEXT) | instid1(VALU_DEP_1)
	v_fmac_f64_e32 v[32:33], v[32:33], v[34:35]
	v_mul_f64_e32 v[34:35], v[36:37], v[32:33]
	s_delay_alu instid0(VALU_DEP_1) | instskip(SKIP_2) | instid1(VALU_DEP_3)
	v_fma_f64 v[30:31], -v[30:31], v[34:35], v[36:37]
	v_mul_f64_e32 v[36:37], v[8:9], v[12:13]
	v_mul_f64_e64 v[12:13], v[12:13], -v[6:7]
	v_div_fmas_f64 v[30:31], v[30:31], v[32:33], v[34:35]
	s_delay_alu instid0(VALU_DEP_3) | instskip(NEXT) | instid1(VALU_DEP_3)
	v_fmac_f64_e32 v[36:37], v[6:7], v[10:11]
	v_fmac_f64_e32 v[12:13], v[8:9], v[10:11]
	v_add_nc_u32_e32 v10, v25, v26
	s_delay_alu instid0(VALU_DEP_4) | instskip(NEXT) | instid1(VALU_DEP_1)
	v_div_fixup_f64 v[28:29], v[30:31], v[28:29], 1.0
	v_mul_f64_e32 v[6:7], v[36:37], v[28:29]
	s_delay_alu instid0(VALU_DEP_4)
	v_mul_f64_e32 v[8:9], v[12:13], v[28:29]
	global_store_b128 v[20:21], v[6:9], off
	s_wait_xcnt 0x0
	v_cmpx_lt_i32_e64 v10, v19
	s_cbranch_execz .LBB40_33
; %bb.39:                               ;   in Loop: Header=BB40_35 Depth=1
	s_mov_b32 s23, 0
	s_branch .LBB40_41
.LBB40_40:                              ;   in Loop: Header=BB40_41 Depth=2
	s_wait_xcnt 0x0
	s_or_b32 exec_lo, exec_lo, s24
	v_add_nc_u32_e32 v10, 32, v10
	s_delay_alu instid0(VALU_DEP_1) | instskip(SKIP_1) | instid1(SALU_CYCLE_1)
	v_cmp_ge_i32_e32 vcc_lo, v10, v19
	s_or_b32 s23, vcc_lo, s23
	s_and_not1_b32 exec_lo, exec_lo, s23
	s_cbranch_execz .LBB40_33
.LBB40_41:                              ;   Parent Loop BB40_35 Depth=1
                                        ; =>  This Loop Header: Depth=2
                                        ;       Child Loop BB40_50 Depth 3
	global_load_b32 v12, v10, s[6:7] scale_offset
	v_dual_ashrrev_i32 v11, 31, v10 :: v_dual_mov_b32 v13, 32
	s_mov_b32 s24, 0
                                        ; implicit-def: $sgpr25
                                        ; implicit-def: $sgpr26
                                        ; implicit-def: $sgpr27
	s_wait_loadcnt 0x0
	v_mul_lo_u32 v21, v12, 7
	s_branch .LBB40_50
.LBB40_42:                              ;   in Loop: Header=BB40_50 Depth=3
	s_or_b32 exec_lo, exec_lo, s39
	s_delay_alu instid0(SALU_CYCLE_1)
	s_or_not1_b32 s37, s37, exec_lo
	s_or_not1_b32 s38, s38, exec_lo
.LBB40_43:                              ;   in Loop: Header=BB40_50 Depth=3
	s_or_b32 exec_lo, exec_lo, s36
	s_delay_alu instid0(SALU_CYCLE_1)
	s_and_b32 s37, s37, exec_lo
	s_or_not1_b32 s36, s38, exec_lo
.LBB40_44:                              ;   in Loop: Header=BB40_50 Depth=3
	s_or_b32 exec_lo, exec_lo, s35
	s_delay_alu instid0(SALU_CYCLE_1)
	s_or_not1_b32 s35, s37, exec_lo
	s_or_not1_b32 s36, s36, exec_lo
.LBB40_45:                              ;   in Loop: Header=BB40_50 Depth=3
	s_or_b32 exec_lo, exec_lo, s34
	s_delay_alu instid0(SALU_CYCLE_1)
	s_and_b32 s35, s35, exec_lo
	s_or_not1_b32 s34, s36, exec_lo
.LBB40_46:                              ;   in Loop: Header=BB40_50 Depth=3
	s_or_b32 exec_lo, exec_lo, s33
	s_delay_alu instid0(SALU_CYCLE_1)
	s_or_not1_b32 s33, s35, exec_lo
	s_or_not1_b32 s34, s34, exec_lo
.LBB40_47:                              ;   in Loop: Header=BB40_50 Depth=3
	s_or_b32 exec_lo, exec_lo, s31
	s_delay_alu instid0(SALU_CYCLE_1)
	s_and_b32 s33, s33, exec_lo
	s_or_not1_b32 s31, s34, exec_lo
.LBB40_48:                              ;   in Loop: Header=BB40_50 Depth=3
	s_or_b32 exec_lo, exec_lo, s30
	s_delay_alu instid0(SALU_CYCLE_1)
	s_and_not1_b32 s27, s27, exec_lo
	s_and_b32 s30, s33, exec_lo
	s_and_not1_b32 s26, s26, exec_lo
	s_and_b32 s31, s31, exec_lo
	s_or_b32 s27, s27, s30
	s_or_b32 s26, s26, s31
.LBB40_49:                              ;   in Loop: Header=BB40_50 Depth=3
	s_or_b32 exec_lo, exec_lo, s29
	s_delay_alu instid0(SALU_CYCLE_1) | instskip(NEXT) | instid1(SALU_CYCLE_1)
	s_and_b32 s29, exec_lo, s26
	s_or_b32 s24, s29, s24
	s_and_not1_b32 s25, s25, exec_lo
	s_and_b32 s29, s27, exec_lo
	s_delay_alu instid0(SALU_CYCLE_1)
	s_or_b32 s25, s25, s29
	s_and_not1_b32 exec_lo, exec_lo, s24
	s_cbranch_execz .LBB40_59
.LBB40_50:                              ;   Parent Loop BB40_35 Depth=1
                                        ;     Parent Loop BB40_41 Depth=2
                                        ; =>    This Inner Loop Header: Depth=3
	s_delay_alu instid0(VALU_DEP_1) | instskip(SKIP_3) | instid1(VALU_DEP_1)
	v_and_b32_e32 v20, 31, v21
	s_or_b32 s27, s27, exec_lo
	s_or_b32 s26, s26, exec_lo
	s_mov_b32 s29, exec_lo
	v_lshl_add_u32 v26, v20, 2, v23
	ds_load_b32 v26, v26
	s_wait_dscnt 0x0
	s_wait_xcnt 0x0
	v_cmpx_ne_u32_e32 -1, v26
	s_cbranch_execz .LBB40_49
; %bb.51:                               ;   in Loop: Header=BB40_50 Depth=3
	s_mov_b32 s31, -1
	s_mov_b32 s33, 0
	s_mov_b32 s30, exec_lo
	v_cmpx_ne_u32_e64 v26, v12
	s_cbranch_execz .LBB40_48
; %bb.52:                               ;   in Loop: Header=BB40_50 Depth=3
	v_add_nc_u32_e32 v20, 1, v21
	s_mov_b32 s34, -1
	s_mov_b32 s33, -1
	s_mov_b32 s31, exec_lo
	s_delay_alu instid0(VALU_DEP_1) | instskip(NEXT) | instid1(VALU_DEP_1)
	v_and_b32_e32 v20, 31, v20
	v_lshl_add_u32 v26, v20, 2, v23
	ds_load_b32 v26, v26
	s_wait_dscnt 0x0
	v_cmpx_ne_u32_e32 -1, v26
	s_cbranch_execz .LBB40_47
; %bb.53:                               ;   in Loop: Header=BB40_50 Depth=3
	s_mov_b32 s35, 0
	s_mov_b32 s33, exec_lo
	v_cmpx_ne_u32_e64 v26, v12
	s_cbranch_execz .LBB40_46
; %bb.54:                               ;   in Loop: Header=BB40_50 Depth=3
	v_add_nc_u32_e32 v20, 2, v21
	s_mov_b32 s36, -1
	s_mov_b32 s35, -1
	s_mov_b32 s34, exec_lo
	s_delay_alu instid0(VALU_DEP_1) | instskip(NEXT) | instid1(VALU_DEP_1)
	v_and_b32_e32 v20, 31, v20
	v_lshl_add_u32 v26, v20, 2, v23
	ds_load_b32 v26, v26
	s_wait_dscnt 0x0
	v_cmpx_ne_u32_e32 -1, v26
	s_cbranch_execz .LBB40_45
; %bb.55:                               ;   in Loop: Header=BB40_50 Depth=3
	s_mov_b32 s37, 0
	s_mov_b32 s35, exec_lo
	v_cmpx_ne_u32_e64 v26, v12
	s_cbranch_execz .LBB40_44
; %bb.56:                               ;   in Loop: Header=BB40_50 Depth=3
	v_add_nc_u32_e32 v20, 3, v21
	s_mov_b32 s38, -1
	s_mov_b32 s37, -1
	s_mov_b32 s36, exec_lo
	s_delay_alu instid0(VALU_DEP_1) | instskip(NEXT) | instid1(VALU_DEP_1)
	v_and_b32_e32 v20, 31, v20
	v_lshl_add_u32 v21, v20, 2, v23
	ds_load_b32 v26, v21
                                        ; implicit-def: $vgpr21
	s_wait_dscnt 0x0
	v_cmpx_ne_u32_e32 -1, v26
	s_cbranch_execz .LBB40_43
; %bb.57:                               ;   in Loop: Header=BB40_50 Depth=3
	s_mov_b32 s37, 0
	s_mov_b32 s39, exec_lo
                                        ; implicit-def: $vgpr21
	v_cmpx_ne_u32_e64 v26, v12
	s_cbranch_execz .LBB40_42
; %bb.58:                               ;   in Loop: Header=BB40_50 Depth=3
	v_dual_add_nc_u32 v13, -4, v13 :: v_dual_add_nc_u32 v21, 1, v20
	s_mov_b32 s37, exec_lo
	s_delay_alu instid0(VALU_DEP_1)
	v_cmp_eq_u32_e32 vcc_lo, 0, v13
	s_or_not1_b32 s38, vcc_lo, exec_lo
	s_branch .LBB40_42
.LBB40_59:                              ;   in Loop: Header=BB40_41 Depth=2
	s_or_b32 exec_lo, exec_lo, s24
	s_xor_b32 s24, s25, -1
	s_delay_alu instid0(SALU_CYCLE_1) | instskip(NEXT) | instid1(SALU_CYCLE_1)
	s_and_saveexec_b32 s25, s24
	s_xor_b32 s24, exec_lo, s25
	s_cbranch_execz .LBB40_40
; %bb.60:                               ;   in Loop: Header=BB40_41 Depth=2
	v_lshl_add_u32 v12, v20, 2, v24
	ds_load_b32 v20, v12
	v_lshl_add_u64 v[12:13], v[10:11], 4, s[8:9]
	global_load_b128 v[26:29], v[12:13], off
	s_wait_dscnt 0x0
	global_load_b128 v[30:33], v20, s[8:9] scale_offset
	s_wait_loadcnt 0x0
	v_fma_f64 v[30:31], -v[6:7], v[26:27], v[30:31]
	s_wait_xcnt 0x1
	v_fma_f64 v[12:13], -v[8:9], v[26:27], v[32:33]
	s_delay_alu instid0(VALU_DEP_2) | instskip(NEXT) | instid1(VALU_DEP_2)
	v_fmac_f64_e32 v[30:31], v[8:9], v[28:29]
	v_fma_f64 v[32:33], -v[6:7], v[28:29], v[12:13]
	global_store_b128 v20, v[30:33], s[8:9] scale_offset
	s_branch .LBB40_40
.LBB40_61:
	s_or_b32 exec_lo, exec_lo, s14
	s_delay_alu instid0(SALU_CYCLE_1)
	s_mov_b32 s4, exec_lo
	s_wait_storecnt 0x0
	v_cmpx_lt_i32_e32 -1, v16
	s_cbranch_execz .LBB40_83
; %bb.62:
	global_load_b128 v[6:9], v16, s[8:9] scale_offset
	s_mov_b32 s2, exec_lo
	s_wait_loadcnt 0x0
	v_cmp_gt_f64_e32 vcc_lo, 0, v[6:7]
	v_xor_b32_e32 v11, 0x80000000, v7
	v_mov_b32_e32 v10, v6
	v_xor_b32_e32 v12, 0x80000000, v9
	s_delay_alu instid0(VALU_DEP_3) | instskip(SKIP_1) | instid1(VALU_DEP_3)
	v_dual_mov_b32 v18, v8 :: v_dual_cndmask_b32 v11, v7, v11
	v_cmp_gt_f64_e32 vcc_lo, 0, v[8:9]
	v_cndmask_b32_e32 v19, v9, v12, vcc_lo
                                        ; implicit-def: $vgpr12_vgpr13
	s_delay_alu instid0(VALU_DEP_1)
	v_cmpx_ngt_f64_e32 v[10:11], v[18:19]
	s_xor_b32 s2, exec_lo, s2
	s_cbranch_execz .LBB40_66
; %bb.63:
	v_mov_b64_e32 v[12:13], 0
	s_mov_b32 s5, exec_lo
	v_cmpx_neq_f64_e32 0, v[8:9]
	s_cbranch_execz .LBB40_65
; %bb.64:
	v_div_scale_f64 v[12:13], null, v[18:19], v[18:19], v[10:11]
	v_div_scale_f64 v[26:27], vcc_lo, v[10:11], v[18:19], v[10:11]
	s_delay_alu instid0(VALU_DEP_2) | instskip(SKIP_1) | instid1(TRANS32_DEP_1)
	v_rcp_f64_e32 v[20:21], v[12:13]
	v_nop
	v_fma_f64 v[24:25], -v[12:13], v[20:21], 1.0
	s_delay_alu instid0(VALU_DEP_1) | instskip(NEXT) | instid1(VALU_DEP_1)
	v_fmac_f64_e32 v[20:21], v[20:21], v[24:25]
	v_fma_f64 v[24:25], -v[12:13], v[20:21], 1.0
	s_delay_alu instid0(VALU_DEP_1) | instskip(NEXT) | instid1(VALU_DEP_1)
	v_fmac_f64_e32 v[20:21], v[20:21], v[24:25]
	v_mul_f64_e32 v[24:25], v[26:27], v[20:21]
	s_delay_alu instid0(VALU_DEP_1) | instskip(NEXT) | instid1(VALU_DEP_1)
	v_fma_f64 v[12:13], -v[12:13], v[24:25], v[26:27]
	v_div_fmas_f64 v[12:13], v[12:13], v[20:21], v[24:25]
	s_delay_alu instid0(VALU_DEP_1) | instskip(NEXT) | instid1(VALU_DEP_1)
	v_div_fixup_f64 v[10:11], v[12:13], v[18:19], v[10:11]
	v_fma_f64 v[10:11], v[10:11], v[10:11], 1.0
	s_delay_alu instid0(VALU_DEP_1) | instskip(SKIP_1) | instid1(VALU_DEP_1)
	v_cmp_gt_f64_e32 vcc_lo, 0x10000000, v[10:11]
	v_cndmask_b32_e64 v12, 0, 0x100, vcc_lo
	v_ldexp_f64 v[10:11], v[10:11], v12
	s_delay_alu instid0(VALU_DEP_1) | instskip(SKIP_1) | instid1(TRANS32_DEP_1)
	v_rsq_f64_e32 v[12:13], v[10:11]
	v_nop
	v_mul_f64_e32 v[20:21], v[10:11], v[12:13]
	v_mul_f64_e32 v[12:13], 0.5, v[12:13]
	s_delay_alu instid0(VALU_DEP_1) | instskip(NEXT) | instid1(VALU_DEP_1)
	v_fma_f64 v[24:25], -v[12:13], v[20:21], 0.5
	v_fmac_f64_e32 v[20:21], v[20:21], v[24:25]
	v_fmac_f64_e32 v[12:13], v[12:13], v[24:25]
	s_delay_alu instid0(VALU_DEP_2) | instskip(NEXT) | instid1(VALU_DEP_1)
	v_fma_f64 v[24:25], -v[20:21], v[20:21], v[10:11]
	v_fmac_f64_e32 v[20:21], v[24:25], v[12:13]
	s_delay_alu instid0(VALU_DEP_1) | instskip(NEXT) | instid1(VALU_DEP_1)
	v_fma_f64 v[24:25], -v[20:21], v[20:21], v[10:11]
	v_fmac_f64_e32 v[20:21], v[24:25], v[12:13]
	v_cndmask_b32_e64 v12, 0, 0xffffff80, vcc_lo
	v_cmp_class_f64_e64 vcc_lo, v[10:11], 0x260
	s_delay_alu instid0(VALU_DEP_2) | instskip(NEXT) | instid1(VALU_DEP_1)
	v_ldexp_f64 v[12:13], v[20:21], v12
	v_dual_cndmask_b32 v11, v13, v11 :: v_dual_cndmask_b32 v10, v12, v10
	s_delay_alu instid0(VALU_DEP_1)
	v_mul_f64_e32 v[12:13], v[18:19], v[10:11]
.LBB40_65:
	s_or_b32 exec_lo, exec_lo, s5
                                        ; implicit-def: $vgpr10_vgpr11
                                        ; implicit-def: $vgpr18_vgpr19
.LBB40_66:
	s_and_not1_saveexec_b32 s2, s2
	s_cbranch_execz .LBB40_68
; %bb.67:
	v_div_scale_f64 v[12:13], null, v[10:11], v[10:11], v[18:19]
	v_div_scale_f64 v[26:27], vcc_lo, v[18:19], v[10:11], v[18:19]
	s_delay_alu instid0(VALU_DEP_2) | instskip(SKIP_1) | instid1(TRANS32_DEP_1)
	v_rcp_f64_e32 v[20:21], v[12:13]
	v_nop
	v_fma_f64 v[24:25], -v[12:13], v[20:21], 1.0
	s_delay_alu instid0(VALU_DEP_1) | instskip(NEXT) | instid1(VALU_DEP_1)
	v_fmac_f64_e32 v[20:21], v[20:21], v[24:25]
	v_fma_f64 v[24:25], -v[12:13], v[20:21], 1.0
	s_delay_alu instid0(VALU_DEP_1) | instskip(NEXT) | instid1(VALU_DEP_1)
	v_fmac_f64_e32 v[20:21], v[20:21], v[24:25]
	v_mul_f64_e32 v[24:25], v[26:27], v[20:21]
	s_delay_alu instid0(VALU_DEP_1) | instskip(NEXT) | instid1(VALU_DEP_1)
	v_fma_f64 v[12:13], -v[12:13], v[24:25], v[26:27]
	v_div_fmas_f64 v[12:13], v[12:13], v[20:21], v[24:25]
	s_delay_alu instid0(VALU_DEP_1) | instskip(NEXT) | instid1(VALU_DEP_1)
	v_div_fixup_f64 v[12:13], v[12:13], v[10:11], v[18:19]
	v_fma_f64 v[12:13], v[12:13], v[12:13], 1.0
	s_delay_alu instid0(VALU_DEP_1) | instskip(SKIP_1) | instid1(VALU_DEP_1)
	v_cmp_gt_f64_e32 vcc_lo, 0x10000000, v[12:13]
	v_cndmask_b32_e64 v18, 0, 0x100, vcc_lo
	v_ldexp_f64 v[12:13], v[12:13], v18
	s_delay_alu instid0(VALU_DEP_1) | instskip(SKIP_1) | instid1(TRANS32_DEP_1)
	v_rsq_f64_e32 v[18:19], v[12:13]
	v_nop
	v_mul_f64_e32 v[20:21], v[12:13], v[18:19]
	v_mul_f64_e32 v[18:19], 0.5, v[18:19]
	s_delay_alu instid0(VALU_DEP_1) | instskip(NEXT) | instid1(VALU_DEP_1)
	v_fma_f64 v[24:25], -v[18:19], v[20:21], 0.5
	v_fmac_f64_e32 v[20:21], v[20:21], v[24:25]
	v_fmac_f64_e32 v[18:19], v[18:19], v[24:25]
	s_delay_alu instid0(VALU_DEP_2) | instskip(NEXT) | instid1(VALU_DEP_1)
	v_fma_f64 v[24:25], -v[20:21], v[20:21], v[12:13]
	v_fmac_f64_e32 v[20:21], v[24:25], v[18:19]
	s_delay_alu instid0(VALU_DEP_1) | instskip(NEXT) | instid1(VALU_DEP_1)
	v_fma_f64 v[24:25], -v[20:21], v[20:21], v[12:13]
	v_fmac_f64_e32 v[20:21], v[24:25], v[18:19]
	v_cndmask_b32_e64 v18, 0, 0xffffff80, vcc_lo
	v_cmp_class_f64_e64 vcc_lo, v[12:13], 0x260
	s_delay_alu instid0(VALU_DEP_2) | instskip(NEXT) | instid1(VALU_DEP_1)
	v_ldexp_f64 v[18:19], v[20:21], v18
	v_dual_cndmask_b32 v13, v19, v13 :: v_dual_cndmask_b32 v12, v18, v12
	s_delay_alu instid0(VALU_DEP_1)
	v_mul_f64_e32 v[12:13], v[10:11], v[12:13]
.LBB40_68:
	s_or_b32 exec_lo, exec_lo, s2
	v_cmp_ne_u32_e32 vcc_lo, 1, v17
	v_cmp_eq_u32_e64 s2, 0, v22
	s_mov_b32 s5, -1
	s_cbranch_vccnz .LBB40_72
; %bb.69:
	v_cvt_f64_f32_e32 v[10:11], s3
	s_cmp_eq_u64 s[20:21], 8
	s_cselect_b32 vcc_lo, -1, 0
	s_delay_alu instid0(VALU_DEP_1) | instskip(NEXT) | instid1(VALU_DEP_1)
	v_dual_cndmask_b32 v11, v11, v15 :: v_dual_cndmask_b32 v10, v10, v14
	v_cmp_le_f64_e32 vcc_lo, v[12:13], v[10:11]
	s_and_b32 s5, s2, vcc_lo
	s_delay_alu instid0(SALU_CYCLE_1)
	s_and_saveexec_b32 s3, s5
	s_cbranch_execz .LBB40_71
; %bb.70:
	v_mov_b32_e32 v17, 0
	s_delay_alu instid0(VALU_DEP_1)
	v_lshl_add_u64 v[10:11], v[16:17], 4, s[8:9]
	global_store_b128 v[10:11], v[2:5], off
	global_wb scope:SCOPE_DEV
	s_wait_storecnt 0x0
	global_inv scope:SCOPE_DEV
.LBB40_71:
	s_wait_xcnt 0x0
	s_or_b32 exec_lo, exec_lo, s3
	s_mov_b32 s5, 0
.LBB40_72:
	s_delay_alu instid0(SALU_CYCLE_1)
	s_and_not1_b32 vcc_lo, exec_lo, s5
	s_cbranch_vccnz .LBB40_83
; %bb.73:
	s_load_b64 s[0:1], s[0:1], 0x48
	v_add_nc_u32_e32 v2, s28, v0
	s_wait_kmcnt 0x0
	v_cmp_ge_f64_e32 vcc_lo, s[0:1], v[12:13]
	s_and_b32 s1, s2, vcc_lo
	s_delay_alu instid0(SALU_CYCLE_1)
	s_and_saveexec_b32 s0, s1
	s_cbranch_execz .LBB40_78
; %bb.74:
	s_mov_b32 s3, exec_lo
	s_brev_b32 s1, -2
.LBB40_75:                              ; =>This Inner Loop Header: Depth=1
	s_ctz_i32_b32 s5, s3
	s_delay_alu instid0(SALU_CYCLE_1) | instskip(SKIP_1) | instid1(SALU_CYCLE_1)
	v_readlane_b32 s6, v2, s5
	s_lshl_b32 s5, 1, s5
	s_and_not1_b32 s3, s3, s5
	s_min_i32 s1, s1, s6
	s_cmp_lg_u32 s3, 0
	s_cbranch_scc1 .LBB40_75
; %bb.76:
	v_mbcnt_lo_u32_b32 v3, exec_lo, 0
	s_mov_b32 s3, exec_lo
	s_delay_alu instid0(VALU_DEP_1)
	v_cmpx_eq_u32_e32 0, v3
	s_xor_b32 s3, exec_lo, s3
	s_cbranch_execz .LBB40_78
; %bb.77:
	v_dual_mov_b32 v3, 0 :: v_dual_mov_b32 v4, s1
	global_atomic_min_i32 v3, v4, s[18:19] scope:SCOPE_DEV
.LBB40_78:
	s_wait_xcnt 0x0
	s_or_b32 exec_lo, exec_lo, s0
	v_cmp_eq_f64_e32 vcc_lo, 0, v[6:7]
	v_cmp_eq_f64_e64 s0, 0, v[8:9]
	s_and_b32 s0, vcc_lo, s0
	s_delay_alu instid0(SALU_CYCLE_1) | instskip(NEXT) | instid1(SALU_CYCLE_1)
	s_and_b32 s0, s2, s0
	s_and_b32 exec_lo, exec_lo, s0
	s_cbranch_execz .LBB40_83
; %bb.79:
	s_mov_b32 s1, exec_lo
	s_brev_b32 s0, -2
.LBB40_80:                              ; =>This Inner Loop Header: Depth=1
	s_ctz_i32_b32 s2, s1
	s_delay_alu instid0(SALU_CYCLE_1) | instskip(SKIP_1) | instid1(SALU_CYCLE_1)
	v_readlane_b32 s3, v2, s2
	s_lshl_b32 s2, 1, s2
	s_and_not1_b32 s1, s1, s2
	s_min_i32 s0, s0, s3
	s_cmp_lg_u32 s1, 0
	s_cbranch_scc1 .LBB40_80
; %bb.81:
	v_mbcnt_lo_u32_b32 v2, exec_lo, 0
	s_mov_b32 s1, exec_lo
	s_delay_alu instid0(VALU_DEP_1)
	v_cmpx_eq_u32_e32 0, v2
	s_xor_b32 s1, exec_lo, s1
	s_cbranch_execz .LBB40_83
; %bb.82:
	v_dual_mov_b32 v2, 0 :: v_dual_mov_b32 v3, s0
	global_atomic_min_i32 v2, v3, s[16:17] scope:SCOPE_DEV
.LBB40_83:
	s_wait_xcnt 0x0
	s_or_b32 exec_lo, exec_lo, s4
	v_cmp_eq_u32_e32 vcc_lo, 0, v22
	global_wb scope:SCOPE_DEV
	s_wait_loadcnt 0x0
	s_wait_storecnt 0x0
	global_inv scope:SCOPE_DEV
	s_and_b32 exec_lo, exec_lo, vcc_lo
	s_cbranch_execz .LBB40_85
; %bb.84:
	v_lshl_add_u64 v[0:1], v[0:1], 2, s[12:13]
	v_mov_b32_e32 v2, 1
	global_wb scope:SCOPE_DEV
	s_wait_loadcnt 0x0
	s_wait_storecnt 0x0
	global_store_b32 v[0:1], v2, off scope:SCOPE_DEV
.LBB40_85:
	s_endpgm
	.section	.rodata,"a",@progbits
	.p2align	6, 0x0
	.amdhsa_kernel _ZN9rocsparseL12csrilu0_hashILj256ELj32ELj1E21rocsparse_complex_numIdEEEviPKiS4_PT2_S4_PiS4_S7_S7_d21rocsparse_index_base_imNS_24const_host_device_scalarIfEENS9_IdEENS9_IS5_EEb
		.amdhsa_group_segment_fixed_size 2048
		.amdhsa_private_segment_fixed_size 16
		.amdhsa_kernarg_size 132
		.amdhsa_user_sgpr_count 2
		.amdhsa_user_sgpr_dispatch_ptr 0
		.amdhsa_user_sgpr_queue_ptr 0
		.amdhsa_user_sgpr_kernarg_segment_ptr 1
		.amdhsa_user_sgpr_dispatch_id 0
		.amdhsa_user_sgpr_kernarg_preload_length 0
		.amdhsa_user_sgpr_kernarg_preload_offset 0
		.amdhsa_user_sgpr_private_segment_size 0
		.amdhsa_wavefront_size32 1
		.amdhsa_uses_dynamic_stack 0
		.amdhsa_enable_private_segment 1
		.amdhsa_system_sgpr_workgroup_id_x 1
		.amdhsa_system_sgpr_workgroup_id_y 0
		.amdhsa_system_sgpr_workgroup_id_z 0
		.amdhsa_system_sgpr_workgroup_info 0
		.amdhsa_system_vgpr_workitem_id 0
		.amdhsa_next_free_vgpr 38
		.amdhsa_next_free_sgpr 40
		.amdhsa_named_barrier_count 0
		.amdhsa_reserve_vcc 1
		.amdhsa_float_round_mode_32 0
		.amdhsa_float_round_mode_16_64 0
		.amdhsa_float_denorm_mode_32 3
		.amdhsa_float_denorm_mode_16_64 3
		.amdhsa_fp16_overflow 0
		.amdhsa_memory_ordered 1
		.amdhsa_forward_progress 1
		.amdhsa_inst_pref_size 28
		.amdhsa_round_robin_scheduling 0
		.amdhsa_exception_fp_ieee_invalid_op 0
		.amdhsa_exception_fp_denorm_src 0
		.amdhsa_exception_fp_ieee_div_zero 0
		.amdhsa_exception_fp_ieee_overflow 0
		.amdhsa_exception_fp_ieee_underflow 0
		.amdhsa_exception_fp_ieee_inexact 0
		.amdhsa_exception_int_div_zero 0
	.end_amdhsa_kernel
	.section	.text._ZN9rocsparseL12csrilu0_hashILj256ELj32ELj1E21rocsparse_complex_numIdEEEviPKiS4_PT2_S4_PiS4_S7_S7_d21rocsparse_index_base_imNS_24const_host_device_scalarIfEENS9_IdEENS9_IS5_EEb,"axG",@progbits,_ZN9rocsparseL12csrilu0_hashILj256ELj32ELj1E21rocsparse_complex_numIdEEEviPKiS4_PT2_S4_PiS4_S7_S7_d21rocsparse_index_base_imNS_24const_host_device_scalarIfEENS9_IdEENS9_IS5_EEb,comdat
.Lfunc_end40:
	.size	_ZN9rocsparseL12csrilu0_hashILj256ELj32ELj1E21rocsparse_complex_numIdEEEviPKiS4_PT2_S4_PiS4_S7_S7_d21rocsparse_index_base_imNS_24const_host_device_scalarIfEENS9_IdEENS9_IS5_EEb, .Lfunc_end40-_ZN9rocsparseL12csrilu0_hashILj256ELj32ELj1E21rocsparse_complex_numIdEEEviPKiS4_PT2_S4_PiS4_S7_S7_d21rocsparse_index_base_imNS_24const_host_device_scalarIfEENS9_IdEENS9_IS5_EEb
                                        ; -- End function
	.set _ZN9rocsparseL12csrilu0_hashILj256ELj32ELj1E21rocsparse_complex_numIdEEEviPKiS4_PT2_S4_PiS4_S7_S7_d21rocsparse_index_base_imNS_24const_host_device_scalarIfEENS9_IdEENS9_IS5_EEb.num_vgpr, 38
	.set _ZN9rocsparseL12csrilu0_hashILj256ELj32ELj1E21rocsparse_complex_numIdEEEviPKiS4_PT2_S4_PiS4_S7_S7_d21rocsparse_index_base_imNS_24const_host_device_scalarIfEENS9_IdEENS9_IS5_EEb.num_agpr, 0
	.set _ZN9rocsparseL12csrilu0_hashILj256ELj32ELj1E21rocsparse_complex_numIdEEEviPKiS4_PT2_S4_PiS4_S7_S7_d21rocsparse_index_base_imNS_24const_host_device_scalarIfEENS9_IdEENS9_IS5_EEb.numbered_sgpr, 40
	.set _ZN9rocsparseL12csrilu0_hashILj256ELj32ELj1E21rocsparse_complex_numIdEEEviPKiS4_PT2_S4_PiS4_S7_S7_d21rocsparse_index_base_imNS_24const_host_device_scalarIfEENS9_IdEENS9_IS5_EEb.num_named_barrier, 0
	.set _ZN9rocsparseL12csrilu0_hashILj256ELj32ELj1E21rocsparse_complex_numIdEEEviPKiS4_PT2_S4_PiS4_S7_S7_d21rocsparse_index_base_imNS_24const_host_device_scalarIfEENS9_IdEENS9_IS5_EEb.private_seg_size, 16
	.set _ZN9rocsparseL12csrilu0_hashILj256ELj32ELj1E21rocsparse_complex_numIdEEEviPKiS4_PT2_S4_PiS4_S7_S7_d21rocsparse_index_base_imNS_24const_host_device_scalarIfEENS9_IdEENS9_IS5_EEb.uses_vcc, 1
	.set _ZN9rocsparseL12csrilu0_hashILj256ELj32ELj1E21rocsparse_complex_numIdEEEviPKiS4_PT2_S4_PiS4_S7_S7_d21rocsparse_index_base_imNS_24const_host_device_scalarIfEENS9_IdEENS9_IS5_EEb.uses_flat_scratch, 0
	.set _ZN9rocsparseL12csrilu0_hashILj256ELj32ELj1E21rocsparse_complex_numIdEEEviPKiS4_PT2_S4_PiS4_S7_S7_d21rocsparse_index_base_imNS_24const_host_device_scalarIfEENS9_IdEENS9_IS5_EEb.has_dyn_sized_stack, 0
	.set _ZN9rocsparseL12csrilu0_hashILj256ELj32ELj1E21rocsparse_complex_numIdEEEviPKiS4_PT2_S4_PiS4_S7_S7_d21rocsparse_index_base_imNS_24const_host_device_scalarIfEENS9_IdEENS9_IS5_EEb.has_recursion, 0
	.set _ZN9rocsparseL12csrilu0_hashILj256ELj32ELj1E21rocsparse_complex_numIdEEEviPKiS4_PT2_S4_PiS4_S7_S7_d21rocsparse_index_base_imNS_24const_host_device_scalarIfEENS9_IdEENS9_IS5_EEb.has_indirect_call, 0
	.section	.AMDGPU.csdata,"",@progbits
; Kernel info:
; codeLenInByte = 3536
; TotalNumSgprs: 42
; NumVgprs: 38
; ScratchSize: 16
; MemoryBound: 0
; FloatMode: 240
; IeeeMode: 1
; LDSByteSize: 2048 bytes/workgroup (compile time only)
; SGPRBlocks: 0
; VGPRBlocks: 2
; NumSGPRsForWavesPerEU: 42
; NumVGPRsForWavesPerEU: 38
; NamedBarCnt: 0
; Occupancy: 16
; WaveLimiterHint : 1
; COMPUTE_PGM_RSRC2:SCRATCH_EN: 1
; COMPUTE_PGM_RSRC2:USER_SGPR: 2
; COMPUTE_PGM_RSRC2:TRAP_HANDLER: 0
; COMPUTE_PGM_RSRC2:TGID_X_EN: 1
; COMPUTE_PGM_RSRC2:TGID_Y_EN: 0
; COMPUTE_PGM_RSRC2:TGID_Z_EN: 0
; COMPUTE_PGM_RSRC2:TIDIG_COMP_CNT: 0
	.section	.text._ZN9rocsparseL12csrilu0_hashILj256ELj32ELj2E21rocsparse_complex_numIdEEEviPKiS4_PT2_S4_PiS4_S7_S7_d21rocsparse_index_base_imNS_24const_host_device_scalarIfEENS9_IdEENS9_IS5_EEb,"axG",@progbits,_ZN9rocsparseL12csrilu0_hashILj256ELj32ELj2E21rocsparse_complex_numIdEEEviPKiS4_PT2_S4_PiS4_S7_S7_d21rocsparse_index_base_imNS_24const_host_device_scalarIfEENS9_IdEENS9_IS5_EEb,comdat
	.globl	_ZN9rocsparseL12csrilu0_hashILj256ELj32ELj2E21rocsparse_complex_numIdEEEviPKiS4_PT2_S4_PiS4_S7_S7_d21rocsparse_index_base_imNS_24const_host_device_scalarIfEENS9_IdEENS9_IS5_EEb ; -- Begin function _ZN9rocsparseL12csrilu0_hashILj256ELj32ELj2E21rocsparse_complex_numIdEEEviPKiS4_PT2_S4_PiS4_S7_S7_d21rocsparse_index_base_imNS_24const_host_device_scalarIfEENS9_IdEENS9_IS5_EEb
	.p2align	8
	.type	_ZN9rocsparseL12csrilu0_hashILj256ELj32ELj2E21rocsparse_complex_numIdEEEviPKiS4_PT2_S4_PiS4_S7_S7_d21rocsparse_index_base_imNS_24const_host_device_scalarIfEENS9_IdEENS9_IS5_EEb,@function
_ZN9rocsparseL12csrilu0_hashILj256ELj32ELj2E21rocsparse_complex_numIdEEEviPKiS4_PT2_S4_PiS4_S7_S7_d21rocsparse_index_base_imNS_24const_host_device_scalarIfEENS9_IdEENS9_IS5_EEb: ; @_ZN9rocsparseL12csrilu0_hashILj256ELj32ELj2E21rocsparse_complex_numIdEEEviPKiS4_PT2_S4_PiS4_S7_S7_d21rocsparse_index_base_imNS_24const_host_device_scalarIfEENS9_IdEENS9_IS5_EEb
; %bb.0:
	s_clause 0x2
	s_load_b96 s[4:6], s[0:1], 0x78
	s_load_b64 s[28:29], s[0:1], 0x50
	s_load_b256 s[20:27], s[0:1], 0x58
	s_wait_kmcnt 0x0
	s_bitcmp1_b32 s6, 0
	s_cselect_b32 s2, -1, 0
	s_cmp_eq_u32 s29, 0
	v_mov_b64_e32 v[2:3], s[26:27]
	s_cselect_b32 s3, -1, 0
	s_cmp_lg_u32 s29, 0
	s_cselect_b32 s8, -1, 0
	s_or_b32 s10, s3, s2
	s_delay_alu instid0(SALU_CYCLE_1)
	s_xor_b32 s9, s10, -1
	s_and_b32 s3, s3, exec_lo
	s_cselect_b32 s7, 0, s25
	s_cselect_b32 s6, 0, s24
	;; [unrolled: 1-line block ×3, first 2 shown]
	s_and_b32 vcc_lo, exec_lo, s10
	scratch_store_b64 off, v[2:3], off
	s_cbranch_vccnz .LBB41_2
; %bb.1:
	s_load_b32 s3, s[22:23], 0x0
	s_mov_b64 s[6:7], s[24:25]
.LBB41_2:
	s_delay_alu instid0(SALU_CYCLE_1)
	v_mov_b64_e32 v[14:15], s[6:7]
	s_and_not1_b32 vcc_lo, exec_lo, s9
	s_cbranch_vccnz .LBB41_4
; %bb.3:
	v_mov_b32_e32 v1, 0
	flat_load_b64 v[14:15], v1, s[24:25]
.LBB41_4:
	v_mov_b64_e32 v[4:5], 0
	s_wait_xcnt 0x0
	v_mov_b64_e32 v[2:3], 0
	v_cndmask_b32_e64 v17, 0, 1, s8
	s_and_not1_b32 vcc_lo, exec_lo, s8
	s_cbranch_vccnz .LBB41_7
; %bb.5:
	v_mbcnt_lo_u32_b32 v1, -1, 0
	v_mov_b32_e32 v2, 0
	v_mov_b64_e32 v[4:5], s[4:5]
	s_delay_alu instid0(VALU_DEP_3) | instskip(NEXT) | instid1(VALU_DEP_1)
	v_lshlrev_b32_e32 v3, 20, v1
	v_add_nc_u64_e32 v[2:3], src_flat_scratch_base_lo, v[2:3]
	s_delay_alu instid0(VALU_DEP_1) | instskip(NEXT) | instid1(VALU_DEP_2)
	v_cndmask_b32_e64 v3, s27, v3, s2
	v_cndmask_b32_e64 v2, s26, v2, s2
	s_xor_b32 s2, s2, -1
	s_delay_alu instid0(SALU_CYCLE_1)
	s_and_not1_b32 vcc_lo, exec_lo, s2
	flat_load_b64 v[2:3], v[2:3]
	s_cbranch_vccnz .LBB41_7
; %bb.6:
	v_mov_b32_e32 v1, 0
	flat_load_b64 v[4:5], v1, s[26:27] offset:8
.LBB41_7:
	s_load_b32 s2, s[0:1], 0x0
	s_bfe_u32 s4, ttmp6, 0x4000c
	v_dual_lshlrev_b32 v1, 1, v0 :: v_dual_bitop2_b32 v22, 31, v0 bitop3:0x40
	s_add_co_i32 s4, s4, 1
	s_and_b32 s5, ttmp6, 15
	s_mul_i32 s4, ttmp9, s4
	s_getreg_b32 s6, hwreg(HW_REG_IB_STS2, 6, 4)
	s_add_co_i32 s5, s5, s4
	s_cmp_eq_u32 s6, 0
	v_and_b32_e32 v8, 0x1c0, v1
	v_dual_lshrrev_b32 v0, 5, v0 :: v_dual_mov_b32 v6, -1
	s_cselect_b32 s4, ttmp9, s5
	s_delay_alu instid0(SALU_CYCLE_1) | instskip(NEXT) | instid1(VALU_DEP_2)
	s_lshl_b32 s4, s4, 3
	v_lshl_or_b32 v23, v8, 2, 0x800
	s_delay_alu instid0(VALU_DEP_2) | instskip(NEXT) | instid1(VALU_DEP_2)
	v_and_or_b32 v0, 0x7fffff8, s4, v0
	v_lshl_or_b32 v1, v22, 2, v23
	s_wait_kmcnt 0x0
	s_delay_alu instid0(VALU_DEP_2)
	v_cmp_gt_i32_e32 vcc_lo, s2, v0
	ds_store_2addr_b32 v1, v6, v6 offset1:32
	s_wait_storecnt 0x0
	s_wait_loadcnt_dscnt 0x0
	s_and_saveexec_b32 s2, vcc_lo
	s_cbranch_execz .LBB41_85
; %bb.8:
	s_load_b512 s[4:19], s[0:1], 0x8
	v_lshlrev_b32_e32 v24, 2, v8
	s_mov_b32 s2, exec_lo
	s_wait_kmcnt 0x0
	global_load_b32 v0, v0, s[14:15] scale_offset
	s_wait_loadcnt 0x0
	v_ashrrev_i32_e32 v1, 31, v0
	s_delay_alu instid0(VALU_DEP_1)
	v_lshl_add_u64 v[6:7], v[0:1], 2, s[4:5]
	global_load_b64 v[10:11], v[6:7], off
	global_load_b32 v16, v0, s[10:11] scale_offset
	s_wait_loadcnt 0x1
	v_subrev_nc_u32_e32 v18, s28, v10
	v_subrev_nc_u32_e32 v6, s28, v11
	s_delay_alu instid0(VALU_DEP_2) | instskip(SKIP_1) | instid1(VALU_DEP_1)
	v_add_nc_u32_e32 v7, v18, v22
	s_wait_xcnt 0x0
	v_cmpx_lt_i32_e64 v7, v6
	s_cbranch_execz .LBB41_31
; %bb.9:
	v_mov_b32_e32 v8, -1
	s_mov_b32 s14, 0
	s_branch .LBB41_11
.LBB41_10:                              ;   in Loop: Header=BB41_11 Depth=1
	s_or_b32 exec_lo, exec_lo, s15
	v_add_nc_u32_e32 v7, 32, v7
	s_delay_alu instid0(VALU_DEP_1) | instskip(SKIP_1) | instid1(SALU_CYCLE_1)
	v_cmp_ge_i32_e32 vcc_lo, v7, v6
	s_or_b32 s14, vcc_lo, s14
	s_and_not1_b32 exec_lo, exec_lo, s14
	s_cbranch_execz .LBB41_31
.LBB41_11:                              ; =>This Loop Header: Depth=1
                                        ;     Child Loop BB41_20 Depth 2
	global_load_b32 v9, v7, s[6:7] scale_offset
	v_mov_b32_e32 v10, 64
	s_mov_b32 s15, 0
                                        ; implicit-def: $sgpr22
                                        ; implicit-def: $sgpr23
                                        ; implicit-def: $sgpr24
	s_wait_loadcnt 0x0
	v_mul_lo_u32 v12, v9, 39
	s_branch .LBB41_20
.LBB41_12:                              ;   in Loop: Header=BB41_20 Depth=2
	s_or_b32 exec_lo, exec_lo, s36
	s_delay_alu instid0(SALU_CYCLE_1)
	s_or_not1_b32 s34, s34, exec_lo
	s_or_not1_b32 s35, s35, exec_lo
.LBB41_13:                              ;   in Loop: Header=BB41_20 Depth=2
	s_or_b32 exec_lo, exec_lo, s33
	s_delay_alu instid0(SALU_CYCLE_1)
	s_and_b32 s34, s34, exec_lo
	s_or_not1_b32 s33, s35, exec_lo
.LBB41_14:                              ;   in Loop: Header=BB41_20 Depth=2
	s_or_b32 exec_lo, exec_lo, s31
	s_delay_alu instid0(SALU_CYCLE_1)
	s_or_not1_b32 s31, s34, exec_lo
	s_or_not1_b32 s33, s33, exec_lo
.LBB41_15:                              ;   in Loop: Header=BB41_20 Depth=2
	s_or_b32 exec_lo, exec_lo, s30
	s_delay_alu instid0(SALU_CYCLE_1)
	s_and_b32 s31, s31, exec_lo
	s_or_not1_b32 s30, s33, exec_lo
.LBB41_16:                              ;   in Loop: Header=BB41_20 Depth=2
	s_or_b32 exec_lo, exec_lo, s29
	s_delay_alu instid0(SALU_CYCLE_1)
	s_or_not1_b32 s29, s31, exec_lo
	s_or_not1_b32 s30, s30, exec_lo
.LBB41_17:                              ;   in Loop: Header=BB41_20 Depth=2
	s_or_b32 exec_lo, exec_lo, s27
	s_delay_alu instid0(SALU_CYCLE_1)
	s_and_b32 s29, s29, exec_lo
	s_or_not1_b32 s27, s30, exec_lo
.LBB41_18:                              ;   in Loop: Header=BB41_20 Depth=2
	s_or_b32 exec_lo, exec_lo, s26
	s_delay_alu instid0(SALU_CYCLE_1)
	s_and_not1_b32 s24, s24, exec_lo
	s_and_b32 s26, s29, exec_lo
	s_and_not1_b32 s23, s23, exec_lo
	s_and_b32 s27, s27, exec_lo
	s_or_b32 s24, s24, s26
	s_or_b32 s23, s23, s27
.LBB41_19:                              ;   in Loop: Header=BB41_20 Depth=2
	s_or_b32 exec_lo, exec_lo, s25
	s_delay_alu instid0(SALU_CYCLE_1) | instskip(NEXT) | instid1(SALU_CYCLE_1)
	s_and_b32 s25, exec_lo, s23
	s_or_b32 s15, s25, s15
	s_and_not1_b32 s22, s22, exec_lo
	s_and_b32 s25, s24, exec_lo
	s_delay_alu instid0(SALU_CYCLE_1)
	s_or_b32 s22, s22, s25
	s_and_not1_b32 exec_lo, exec_lo, s15
	s_cbranch_execz .LBB41_29
.LBB41_20:                              ;   Parent Loop BB41_11 Depth=1
                                        ; =>  This Inner Loop Header: Depth=2
	s_delay_alu instid0(VALU_DEP_1) | instskip(SKIP_3) | instid1(VALU_DEP_1)
	v_and_b32_e32 v11, 63, v12
	s_or_b32 s24, s24, exec_lo
	s_or_b32 s23, s23, exec_lo
	s_mov_b32 s25, exec_lo
	v_lshl_add_u32 v13, v11, 2, v23
	ds_load_b32 v19, v13
	s_wait_dscnt 0x0
	s_wait_xcnt 0x0
	v_cmpx_ne_u32_e64 v19, v9
	s_cbranch_execz .LBB41_19
; %bb.21:                               ;   in Loop: Header=BB41_20 Depth=2
	ds_cmpstore_rtn_b32 v13, v13, v9, v8
	s_mov_b32 s27, -1
	s_mov_b32 s29, 0
	s_mov_b32 s26, exec_lo
	s_wait_dscnt 0x0
	v_cmpx_ne_u32_e32 -1, v13
	s_cbranch_execz .LBB41_18
; %bb.22:                               ;   in Loop: Header=BB41_20 Depth=2
	v_add_nc_u32_e32 v11, 1, v12
	s_mov_b32 s30, -1
	s_mov_b32 s29, -1
	s_mov_b32 s27, exec_lo
	s_delay_alu instid0(VALU_DEP_1) | instskip(NEXT) | instid1(VALU_DEP_1)
	v_and_b32_e32 v11, 63, v11
	v_lshl_add_u32 v13, v11, 2, v23
	ds_load_b32 v19, v13
	s_wait_dscnt 0x0
	v_cmpx_ne_u32_e64 v19, v9
	s_cbranch_execz .LBB41_17
; %bb.23:                               ;   in Loop: Header=BB41_20 Depth=2
	ds_cmpstore_rtn_b32 v13, v13, v9, v8
	s_mov_b32 s31, 0
	s_mov_b32 s29, exec_lo
	s_wait_dscnt 0x0
	v_cmpx_ne_u32_e32 -1, v13
	s_cbranch_execz .LBB41_16
; %bb.24:                               ;   in Loop: Header=BB41_20 Depth=2
	v_add_nc_u32_e32 v11, 2, v12
	s_mov_b32 s33, -1
	s_mov_b32 s31, -1
	s_mov_b32 s30, exec_lo
	s_delay_alu instid0(VALU_DEP_1) | instskip(NEXT) | instid1(VALU_DEP_1)
	v_and_b32_e32 v11, 63, v11
	v_lshl_add_u32 v13, v11, 2, v23
	ds_load_b32 v19, v13
	s_wait_dscnt 0x0
	v_cmpx_ne_u32_e64 v19, v9
	s_cbranch_execz .LBB41_15
; %bb.25:                               ;   in Loop: Header=BB41_20 Depth=2
	ds_cmpstore_rtn_b32 v13, v13, v9, v8
	s_mov_b32 s34, 0
	s_mov_b32 s31, exec_lo
	s_wait_dscnt 0x0
	v_cmpx_ne_u32_e32 -1, v13
	s_cbranch_execz .LBB41_14
; %bb.26:                               ;   in Loop: Header=BB41_20 Depth=2
	v_add_nc_u32_e32 v11, 3, v12
	s_mov_b32 s35, -1
	s_mov_b32 s34, -1
	s_delay_alu instid0(VALU_DEP_1) | instskip(NEXT) | instid1(VALU_DEP_1)
	v_and_b32_e32 v11, 63, v11
	v_lshl_add_u32 v13, v11, 2, v23
	ds_load_b32 v12, v13
	s_wait_dscnt 0x0
	v_cmp_ne_u32_e32 vcc_lo, v12, v9
                                        ; implicit-def: $vgpr12
	s_and_saveexec_b32 s33, vcc_lo
	s_cbranch_execz .LBB41_13
; %bb.27:                               ;   in Loop: Header=BB41_20 Depth=2
	ds_cmpstore_rtn_b32 v12, v13, v9, v8
	s_mov_b32 s34, 0
	s_wait_dscnt 0x0
	v_cmp_ne_u32_e32 vcc_lo, -1, v12
                                        ; implicit-def: $vgpr12
	s_and_saveexec_b32 s36, vcc_lo
	s_cbranch_execz .LBB41_12
; %bb.28:                               ;   in Loop: Header=BB41_20 Depth=2
	v_dual_add_nc_u32 v10, -4, v10 :: v_dual_add_nc_u32 v12, 1, v11
	s_mov_b32 s34, exec_lo
	s_delay_alu instid0(VALU_DEP_1)
	v_cmp_eq_u32_e32 vcc_lo, 0, v10
	s_or_not1_b32 s35, vcc_lo, exec_lo
	s_branch .LBB41_12
.LBB41_29:                              ;   in Loop: Header=BB41_11 Depth=1
	s_or_b32 exec_lo, exec_lo, s15
	s_xor_b32 s15, s22, -1
	s_delay_alu instid0(SALU_CYCLE_1) | instskip(NEXT) | instid1(SALU_CYCLE_1)
	s_and_saveexec_b32 s22, s15
	s_xor_b32 s15, exec_lo, s22
	s_cbranch_execz .LBB41_10
; %bb.30:                               ;   in Loop: Header=BB41_11 Depth=1
	v_lshl_add_u32 v9, v11, 2, v24
	ds_store_b32 v9, v7
	s_branch .LBB41_10
.LBB41_31:
	s_or_b32 exec_lo, exec_lo, s2
	s_delay_alu instid0(SALU_CYCLE_1)
	s_mov_b32 s14, exec_lo
	s_wait_loadcnt_dscnt 0x0
	v_cmpx_lt_i32_e64 v18, v16
	s_cbranch_execz .LBB41_61
; %bb.32:
	v_add_nc_u32_e32 v25, 1, v22
	s_mov_b32 s15, 0
	s_branch .LBB41_35
.LBB41_33:                              ;   in Loop: Header=BB41_35 Depth=1
	s_or_b32 exec_lo, exec_lo, s22
	v_add_nc_u32_e32 v18, 1, v18
	s_delay_alu instid0(VALU_DEP_1)
	v_cmp_ge_i32_e32 vcc_lo, v18, v16
	s_or_not1_b32 s22, vcc_lo, exec_lo
.LBB41_34:                              ;   in Loop: Header=BB41_35 Depth=1
	s_or_b32 exec_lo, exec_lo, s2
	s_delay_alu instid0(SALU_CYCLE_1) | instskip(NEXT) | instid1(SALU_CYCLE_1)
	s_and_b32 s2, exec_lo, s22
	s_or_b32 s15, s2, s15
	s_delay_alu instid0(SALU_CYCLE_1)
	s_and_not1_b32 exec_lo, exec_lo, s15
	s_cbranch_execz .LBB41_61
.LBB41_35:                              ; =>This Loop Header: Depth=1
                                        ;     Child Loop BB41_36 Depth 2
                                        ;     Child Loop BB41_41 Depth 2
                                        ;       Child Loop BB41_50 Depth 3
	s_clause 0x1
	global_load_b32 v10, v18, s[6:7] scale_offset
	global_load_b128 v[6:9], v18, s[8:9] scale_offset
	v_ashrrev_i32_e32 v19, 31, v18
	s_mov_b32 s2, 0
	s_delay_alu instid0(VALU_DEP_1)
	v_lshl_add_u64 v[20:21], v[18:19], 4, s[8:9]
	s_wait_loadcnt 0x1
	v_subrev_nc_u32_e32 v10, s28, v10
	s_clause 0x1
	global_load_b32 v13, v10, s[4:5] offset:4 scale_offset
	global_load_b32 v12, v10, s[10:11] scale_offset
	v_ashrrev_i32_e32 v11, 31, v10
	s_wait_xcnt 0x0
	s_delay_alu instid0(VALU_DEP_1)
	v_lshl_add_u64 v[10:11], v[10:11], 2, s[12:13]
.LBB41_36:                              ;   Parent Loop BB41_35 Depth=1
                                        ; =>  This Inner Loop Header: Depth=2
	global_load_b32 v19, v[10:11], off scope:SCOPE_DEV
	s_wait_loadcnt 0x0
	v_cmp_ne_u32_e32 vcc_lo, 0, v19
	s_or_b32 s2, vcc_lo, s2
	s_wait_xcnt 0x0
	s_and_not1_b32 exec_lo, exec_lo, s2
	s_cbranch_execnz .LBB41_36
; %bb.37:                               ;   in Loop: Header=BB41_35 Depth=1
	s_or_b32 exec_lo, exec_lo, s2
	v_subrev_nc_u32_e32 v19, s28, v13
	v_cmp_eq_u32_e32 vcc_lo, -1, v12
	global_inv scope:SCOPE_DEV
	s_mov_b32 s22, -1
	v_add_nc_u32_e32 v10, -1, v19
	s_delay_alu instid0(VALU_DEP_1)
	v_cndmask_b32_e32 v26, v12, v10, vcc_lo
	global_load_b128 v[10:13], v26, s[8:9] scale_offset
	s_wait_loadcnt 0x0
	v_cmp_neq_f64_e32 vcc_lo, 0, v[10:11]
	v_cmp_neq_f64_e64 s2, 0, v[12:13]
	s_or_b32 s23, vcc_lo, s2
	s_wait_xcnt 0x0
	s_and_saveexec_b32 s2, s23
	s_cbranch_execz .LBB41_34
; %bb.38:                               ;   in Loop: Header=BB41_35 Depth=1
	v_mul_f64_e32 v[28:29], v[12:13], v[12:13]
	s_mov_b32 s22, exec_lo
	s_delay_alu instid0(VALU_DEP_1) | instskip(NEXT) | instid1(VALU_DEP_1)
	v_fmac_f64_e32 v[28:29], v[10:11], v[10:11]
	v_div_scale_f64 v[30:31], null, v[28:29], v[28:29], 1.0
	v_div_scale_f64 v[36:37], vcc_lo, 1.0, v[28:29], 1.0
	s_delay_alu instid0(VALU_DEP_2) | instskip(SKIP_1) | instid1(TRANS32_DEP_1)
	v_rcp_f64_e32 v[32:33], v[30:31]
	v_nop
	v_fma_f64 v[34:35], -v[30:31], v[32:33], 1.0
	s_delay_alu instid0(VALU_DEP_1) | instskip(NEXT) | instid1(VALU_DEP_1)
	v_fmac_f64_e32 v[32:33], v[32:33], v[34:35]
	v_fma_f64 v[34:35], -v[30:31], v[32:33], 1.0
	s_delay_alu instid0(VALU_DEP_1) | instskip(NEXT) | instid1(VALU_DEP_1)
	v_fmac_f64_e32 v[32:33], v[32:33], v[34:35]
	v_mul_f64_e32 v[34:35], v[36:37], v[32:33]
	s_delay_alu instid0(VALU_DEP_1) | instskip(SKIP_2) | instid1(VALU_DEP_3)
	v_fma_f64 v[30:31], -v[30:31], v[34:35], v[36:37]
	v_mul_f64_e32 v[36:37], v[8:9], v[12:13]
	v_mul_f64_e64 v[12:13], v[12:13], -v[6:7]
	v_div_fmas_f64 v[30:31], v[30:31], v[32:33], v[34:35]
	s_delay_alu instid0(VALU_DEP_3) | instskip(NEXT) | instid1(VALU_DEP_3)
	v_fmac_f64_e32 v[36:37], v[6:7], v[10:11]
	v_fmac_f64_e32 v[12:13], v[8:9], v[10:11]
	v_add_nc_u32_e32 v10, v25, v26
	s_delay_alu instid0(VALU_DEP_4) | instskip(NEXT) | instid1(VALU_DEP_1)
	v_div_fixup_f64 v[28:29], v[30:31], v[28:29], 1.0
	v_mul_f64_e32 v[6:7], v[36:37], v[28:29]
	s_delay_alu instid0(VALU_DEP_4)
	v_mul_f64_e32 v[8:9], v[12:13], v[28:29]
	global_store_b128 v[20:21], v[6:9], off
	s_wait_xcnt 0x0
	v_cmpx_lt_i32_e64 v10, v19
	s_cbranch_execz .LBB41_33
; %bb.39:                               ;   in Loop: Header=BB41_35 Depth=1
	s_mov_b32 s23, 0
	s_branch .LBB41_41
.LBB41_40:                              ;   in Loop: Header=BB41_41 Depth=2
	s_wait_xcnt 0x0
	s_or_b32 exec_lo, exec_lo, s24
	v_add_nc_u32_e32 v10, 32, v10
	s_delay_alu instid0(VALU_DEP_1) | instskip(SKIP_1) | instid1(SALU_CYCLE_1)
	v_cmp_ge_i32_e32 vcc_lo, v10, v19
	s_or_b32 s23, vcc_lo, s23
	s_and_not1_b32 exec_lo, exec_lo, s23
	s_cbranch_execz .LBB41_33
.LBB41_41:                              ;   Parent Loop BB41_35 Depth=1
                                        ; =>  This Loop Header: Depth=2
                                        ;       Child Loop BB41_50 Depth 3
	global_load_b32 v12, v10, s[6:7] scale_offset
	v_dual_ashrrev_i32 v11, 31, v10 :: v_dual_mov_b32 v13, 64
	s_mov_b32 s24, 0
                                        ; implicit-def: $sgpr25
                                        ; implicit-def: $sgpr26
                                        ; implicit-def: $sgpr27
	s_wait_loadcnt 0x0
	v_mul_lo_u32 v21, v12, 39
	s_branch .LBB41_50
.LBB41_42:                              ;   in Loop: Header=BB41_50 Depth=3
	s_or_b32 exec_lo, exec_lo, s39
	s_delay_alu instid0(SALU_CYCLE_1)
	s_or_not1_b32 s37, s37, exec_lo
	s_or_not1_b32 s38, s38, exec_lo
.LBB41_43:                              ;   in Loop: Header=BB41_50 Depth=3
	s_or_b32 exec_lo, exec_lo, s36
	s_delay_alu instid0(SALU_CYCLE_1)
	s_and_b32 s37, s37, exec_lo
	s_or_not1_b32 s36, s38, exec_lo
.LBB41_44:                              ;   in Loop: Header=BB41_50 Depth=3
	s_or_b32 exec_lo, exec_lo, s35
	s_delay_alu instid0(SALU_CYCLE_1)
	s_or_not1_b32 s35, s37, exec_lo
	s_or_not1_b32 s36, s36, exec_lo
.LBB41_45:                              ;   in Loop: Header=BB41_50 Depth=3
	s_or_b32 exec_lo, exec_lo, s34
	s_delay_alu instid0(SALU_CYCLE_1)
	s_and_b32 s35, s35, exec_lo
	s_or_not1_b32 s34, s36, exec_lo
.LBB41_46:                              ;   in Loop: Header=BB41_50 Depth=3
	s_or_b32 exec_lo, exec_lo, s33
	s_delay_alu instid0(SALU_CYCLE_1)
	s_or_not1_b32 s33, s35, exec_lo
	s_or_not1_b32 s34, s34, exec_lo
.LBB41_47:                              ;   in Loop: Header=BB41_50 Depth=3
	s_or_b32 exec_lo, exec_lo, s31
	s_delay_alu instid0(SALU_CYCLE_1)
	s_and_b32 s33, s33, exec_lo
	s_or_not1_b32 s31, s34, exec_lo
.LBB41_48:                              ;   in Loop: Header=BB41_50 Depth=3
	s_or_b32 exec_lo, exec_lo, s30
	s_delay_alu instid0(SALU_CYCLE_1)
	s_and_not1_b32 s27, s27, exec_lo
	s_and_b32 s30, s33, exec_lo
	s_and_not1_b32 s26, s26, exec_lo
	s_and_b32 s31, s31, exec_lo
	s_or_b32 s27, s27, s30
	s_or_b32 s26, s26, s31
.LBB41_49:                              ;   in Loop: Header=BB41_50 Depth=3
	s_or_b32 exec_lo, exec_lo, s29
	s_delay_alu instid0(SALU_CYCLE_1) | instskip(NEXT) | instid1(SALU_CYCLE_1)
	s_and_b32 s29, exec_lo, s26
	s_or_b32 s24, s29, s24
	s_and_not1_b32 s25, s25, exec_lo
	s_and_b32 s29, s27, exec_lo
	s_delay_alu instid0(SALU_CYCLE_1)
	s_or_b32 s25, s25, s29
	s_and_not1_b32 exec_lo, exec_lo, s24
	s_cbranch_execz .LBB41_59
.LBB41_50:                              ;   Parent Loop BB41_35 Depth=1
                                        ;     Parent Loop BB41_41 Depth=2
                                        ; =>    This Inner Loop Header: Depth=3
	s_delay_alu instid0(VALU_DEP_1) | instskip(SKIP_3) | instid1(VALU_DEP_1)
	v_and_b32_e32 v20, 63, v21
	s_or_b32 s27, s27, exec_lo
	s_or_b32 s26, s26, exec_lo
	s_mov_b32 s29, exec_lo
	v_lshl_add_u32 v26, v20, 2, v23
	ds_load_b32 v26, v26
	s_wait_dscnt 0x0
	s_wait_xcnt 0x0
	v_cmpx_ne_u32_e32 -1, v26
	s_cbranch_execz .LBB41_49
; %bb.51:                               ;   in Loop: Header=BB41_50 Depth=3
	s_mov_b32 s31, -1
	s_mov_b32 s33, 0
	s_mov_b32 s30, exec_lo
	v_cmpx_ne_u32_e64 v26, v12
	s_cbranch_execz .LBB41_48
; %bb.52:                               ;   in Loop: Header=BB41_50 Depth=3
	v_add_nc_u32_e32 v20, 1, v21
	s_mov_b32 s34, -1
	s_mov_b32 s33, -1
	s_mov_b32 s31, exec_lo
	s_delay_alu instid0(VALU_DEP_1) | instskip(NEXT) | instid1(VALU_DEP_1)
	v_and_b32_e32 v20, 63, v20
	v_lshl_add_u32 v26, v20, 2, v23
	ds_load_b32 v26, v26
	s_wait_dscnt 0x0
	v_cmpx_ne_u32_e32 -1, v26
	s_cbranch_execz .LBB41_47
; %bb.53:                               ;   in Loop: Header=BB41_50 Depth=3
	s_mov_b32 s35, 0
	s_mov_b32 s33, exec_lo
	v_cmpx_ne_u32_e64 v26, v12
	s_cbranch_execz .LBB41_46
; %bb.54:                               ;   in Loop: Header=BB41_50 Depth=3
	v_add_nc_u32_e32 v20, 2, v21
	s_mov_b32 s36, -1
	s_mov_b32 s35, -1
	s_mov_b32 s34, exec_lo
	s_delay_alu instid0(VALU_DEP_1) | instskip(NEXT) | instid1(VALU_DEP_1)
	v_and_b32_e32 v20, 63, v20
	v_lshl_add_u32 v26, v20, 2, v23
	ds_load_b32 v26, v26
	s_wait_dscnt 0x0
	v_cmpx_ne_u32_e32 -1, v26
	s_cbranch_execz .LBB41_45
; %bb.55:                               ;   in Loop: Header=BB41_50 Depth=3
	s_mov_b32 s37, 0
	s_mov_b32 s35, exec_lo
	v_cmpx_ne_u32_e64 v26, v12
	s_cbranch_execz .LBB41_44
; %bb.56:                               ;   in Loop: Header=BB41_50 Depth=3
	v_add_nc_u32_e32 v20, 3, v21
	s_mov_b32 s38, -1
	s_mov_b32 s37, -1
	s_mov_b32 s36, exec_lo
	s_delay_alu instid0(VALU_DEP_1) | instskip(NEXT) | instid1(VALU_DEP_1)
	v_and_b32_e32 v20, 63, v20
	v_lshl_add_u32 v21, v20, 2, v23
	ds_load_b32 v26, v21
                                        ; implicit-def: $vgpr21
	s_wait_dscnt 0x0
	v_cmpx_ne_u32_e32 -1, v26
	s_cbranch_execz .LBB41_43
; %bb.57:                               ;   in Loop: Header=BB41_50 Depth=3
	s_mov_b32 s37, 0
	s_mov_b32 s39, exec_lo
                                        ; implicit-def: $vgpr21
	v_cmpx_ne_u32_e64 v26, v12
	s_cbranch_execz .LBB41_42
; %bb.58:                               ;   in Loop: Header=BB41_50 Depth=3
	v_dual_add_nc_u32 v13, -4, v13 :: v_dual_add_nc_u32 v21, 1, v20
	s_mov_b32 s37, exec_lo
	s_delay_alu instid0(VALU_DEP_1)
	v_cmp_eq_u32_e32 vcc_lo, 0, v13
	s_or_not1_b32 s38, vcc_lo, exec_lo
	s_branch .LBB41_42
.LBB41_59:                              ;   in Loop: Header=BB41_41 Depth=2
	s_or_b32 exec_lo, exec_lo, s24
	s_xor_b32 s24, s25, -1
	s_delay_alu instid0(SALU_CYCLE_1) | instskip(NEXT) | instid1(SALU_CYCLE_1)
	s_and_saveexec_b32 s25, s24
	s_xor_b32 s24, exec_lo, s25
	s_cbranch_execz .LBB41_40
; %bb.60:                               ;   in Loop: Header=BB41_41 Depth=2
	v_lshl_add_u32 v12, v20, 2, v24
	ds_load_b32 v20, v12
	v_lshl_add_u64 v[12:13], v[10:11], 4, s[8:9]
	global_load_b128 v[26:29], v[12:13], off
	s_wait_dscnt 0x0
	global_load_b128 v[30:33], v20, s[8:9] scale_offset
	s_wait_loadcnt 0x0
	v_fma_f64 v[30:31], -v[6:7], v[26:27], v[30:31]
	s_wait_xcnt 0x1
	v_fma_f64 v[12:13], -v[8:9], v[26:27], v[32:33]
	s_delay_alu instid0(VALU_DEP_2) | instskip(NEXT) | instid1(VALU_DEP_2)
	v_fmac_f64_e32 v[30:31], v[8:9], v[28:29]
	v_fma_f64 v[32:33], -v[6:7], v[28:29], v[12:13]
	global_store_b128 v20, v[30:33], s[8:9] scale_offset
	s_branch .LBB41_40
.LBB41_61:
	s_or_b32 exec_lo, exec_lo, s14
	s_delay_alu instid0(SALU_CYCLE_1)
	s_mov_b32 s4, exec_lo
	s_wait_storecnt 0x0
	v_cmpx_lt_i32_e32 -1, v16
	s_cbranch_execz .LBB41_83
; %bb.62:
	global_load_b128 v[6:9], v16, s[8:9] scale_offset
	s_mov_b32 s2, exec_lo
                                        ; implicit-def: $vgpr18_vgpr19
	s_wait_loadcnt 0x0
	v_cmp_gt_f64_e32 vcc_lo, 0, v[6:7]
	v_xor_b32_e32 v11, 0x80000000, v7
	v_mov_b32_e32 v10, v6
	v_xor_b32_e32 v12, 0x80000000, v9
	s_delay_alu instid0(VALU_DEP_3) | instskip(SKIP_1) | instid1(VALU_DEP_3)
	v_cndmask_b32_e32 v11, v7, v11, vcc_lo
	v_cmp_gt_f64_e32 vcc_lo, 0, v[8:9]
	v_dual_cndmask_b32 v13, v9, v12 :: v_dual_mov_b32 v12, v8
	s_delay_alu instid0(VALU_DEP_1)
	v_cmpx_ngt_f64_e32 v[10:11], v[12:13]
	s_xor_b32 s2, exec_lo, s2
	s_cbranch_execz .LBB41_66
; %bb.63:
	v_mov_b64_e32 v[18:19], 0
	s_mov_b32 s5, exec_lo
	v_cmpx_neq_f64_e32 0, v[8:9]
	s_cbranch_execz .LBB41_65
; %bb.64:
	v_div_scale_f64 v[18:19], null, v[12:13], v[12:13], v[10:11]
	v_div_scale_f64 v[26:27], vcc_lo, v[10:11], v[12:13], v[10:11]
	s_delay_alu instid0(VALU_DEP_2) | instskip(SKIP_1) | instid1(TRANS32_DEP_1)
	v_rcp_f64_e32 v[20:21], v[18:19]
	v_nop
	v_fma_f64 v[24:25], -v[18:19], v[20:21], 1.0
	s_delay_alu instid0(VALU_DEP_1) | instskip(NEXT) | instid1(VALU_DEP_1)
	v_fmac_f64_e32 v[20:21], v[20:21], v[24:25]
	v_fma_f64 v[24:25], -v[18:19], v[20:21], 1.0
	s_delay_alu instid0(VALU_DEP_1) | instskip(NEXT) | instid1(VALU_DEP_1)
	v_fmac_f64_e32 v[20:21], v[20:21], v[24:25]
	v_mul_f64_e32 v[24:25], v[26:27], v[20:21]
	s_delay_alu instid0(VALU_DEP_1) | instskip(NEXT) | instid1(VALU_DEP_1)
	v_fma_f64 v[18:19], -v[18:19], v[24:25], v[26:27]
	v_div_fmas_f64 v[18:19], v[18:19], v[20:21], v[24:25]
	s_delay_alu instid0(VALU_DEP_1) | instskip(NEXT) | instid1(VALU_DEP_1)
	v_div_fixup_f64 v[10:11], v[18:19], v[12:13], v[10:11]
	v_fma_f64 v[10:11], v[10:11], v[10:11], 1.0
	s_delay_alu instid0(VALU_DEP_1) | instskip(SKIP_1) | instid1(VALU_DEP_1)
	v_cmp_gt_f64_e32 vcc_lo, 0x10000000, v[10:11]
	v_cndmask_b32_e64 v18, 0, 0x100, vcc_lo
	v_ldexp_f64 v[10:11], v[10:11], v18
	s_delay_alu instid0(VALU_DEP_1) | instskip(SKIP_1) | instid1(TRANS32_DEP_1)
	v_rsq_f64_e32 v[18:19], v[10:11]
	v_nop
	v_mul_f64_e32 v[20:21], v[10:11], v[18:19]
	v_mul_f64_e32 v[18:19], 0.5, v[18:19]
	s_delay_alu instid0(VALU_DEP_1) | instskip(NEXT) | instid1(VALU_DEP_1)
	v_fma_f64 v[24:25], -v[18:19], v[20:21], 0.5
	v_fmac_f64_e32 v[20:21], v[20:21], v[24:25]
	v_fmac_f64_e32 v[18:19], v[18:19], v[24:25]
	s_delay_alu instid0(VALU_DEP_2) | instskip(NEXT) | instid1(VALU_DEP_1)
	v_fma_f64 v[24:25], -v[20:21], v[20:21], v[10:11]
	v_fmac_f64_e32 v[20:21], v[24:25], v[18:19]
	s_delay_alu instid0(VALU_DEP_1) | instskip(NEXT) | instid1(VALU_DEP_1)
	v_fma_f64 v[24:25], -v[20:21], v[20:21], v[10:11]
	v_fmac_f64_e32 v[20:21], v[24:25], v[18:19]
	v_cndmask_b32_e64 v18, 0, 0xffffff80, vcc_lo
	v_cmp_class_f64_e64 vcc_lo, v[10:11], 0x260
	s_delay_alu instid0(VALU_DEP_2) | instskip(NEXT) | instid1(VALU_DEP_1)
	v_ldexp_f64 v[18:19], v[20:21], v18
	v_dual_cndmask_b32 v11, v19, v11 :: v_dual_cndmask_b32 v10, v18, v10
	s_delay_alu instid0(VALU_DEP_1)
	v_mul_f64_e32 v[18:19], v[12:13], v[10:11]
.LBB41_65:
	s_or_b32 exec_lo, exec_lo, s5
                                        ; implicit-def: $vgpr10_vgpr11
                                        ; implicit-def: $vgpr12_vgpr13
.LBB41_66:
	s_and_not1_saveexec_b32 s2, s2
	s_cbranch_execz .LBB41_68
; %bb.67:
	v_div_scale_f64 v[18:19], null, v[10:11], v[10:11], v[12:13]
	v_div_scale_f64 v[26:27], vcc_lo, v[12:13], v[10:11], v[12:13]
	s_delay_alu instid0(VALU_DEP_2) | instskip(SKIP_1) | instid1(TRANS32_DEP_1)
	v_rcp_f64_e32 v[20:21], v[18:19]
	v_nop
	v_fma_f64 v[24:25], -v[18:19], v[20:21], 1.0
	s_delay_alu instid0(VALU_DEP_1) | instskip(NEXT) | instid1(VALU_DEP_1)
	v_fmac_f64_e32 v[20:21], v[20:21], v[24:25]
	v_fma_f64 v[24:25], -v[18:19], v[20:21], 1.0
	s_delay_alu instid0(VALU_DEP_1) | instskip(NEXT) | instid1(VALU_DEP_1)
	v_fmac_f64_e32 v[20:21], v[20:21], v[24:25]
	v_mul_f64_e32 v[24:25], v[26:27], v[20:21]
	s_delay_alu instid0(VALU_DEP_1) | instskip(NEXT) | instid1(VALU_DEP_1)
	v_fma_f64 v[18:19], -v[18:19], v[24:25], v[26:27]
	v_div_fmas_f64 v[18:19], v[18:19], v[20:21], v[24:25]
	s_delay_alu instid0(VALU_DEP_1) | instskip(NEXT) | instid1(VALU_DEP_1)
	v_div_fixup_f64 v[12:13], v[18:19], v[10:11], v[12:13]
	v_fma_f64 v[12:13], v[12:13], v[12:13], 1.0
	s_delay_alu instid0(VALU_DEP_1) | instskip(SKIP_1) | instid1(VALU_DEP_1)
	v_cmp_gt_f64_e32 vcc_lo, 0x10000000, v[12:13]
	v_cndmask_b32_e64 v18, 0, 0x100, vcc_lo
	v_ldexp_f64 v[12:13], v[12:13], v18
	s_delay_alu instid0(VALU_DEP_1) | instskip(SKIP_1) | instid1(TRANS32_DEP_1)
	v_rsq_f64_e32 v[18:19], v[12:13]
	v_nop
	v_mul_f64_e32 v[20:21], v[12:13], v[18:19]
	v_mul_f64_e32 v[18:19], 0.5, v[18:19]
	s_delay_alu instid0(VALU_DEP_1) | instskip(NEXT) | instid1(VALU_DEP_1)
	v_fma_f64 v[24:25], -v[18:19], v[20:21], 0.5
	v_fmac_f64_e32 v[20:21], v[20:21], v[24:25]
	v_fmac_f64_e32 v[18:19], v[18:19], v[24:25]
	s_delay_alu instid0(VALU_DEP_2) | instskip(NEXT) | instid1(VALU_DEP_1)
	v_fma_f64 v[24:25], -v[20:21], v[20:21], v[12:13]
	v_fmac_f64_e32 v[20:21], v[24:25], v[18:19]
	s_delay_alu instid0(VALU_DEP_1) | instskip(NEXT) | instid1(VALU_DEP_1)
	v_fma_f64 v[24:25], -v[20:21], v[20:21], v[12:13]
	v_fmac_f64_e32 v[20:21], v[24:25], v[18:19]
	v_cndmask_b32_e64 v18, 0, 0xffffff80, vcc_lo
	v_cmp_class_f64_e64 vcc_lo, v[12:13], 0x260
	s_delay_alu instid0(VALU_DEP_2) | instskip(NEXT) | instid1(VALU_DEP_1)
	v_ldexp_f64 v[18:19], v[20:21], v18
	v_dual_cndmask_b32 v13, v19, v13 :: v_dual_cndmask_b32 v12, v18, v12
	s_delay_alu instid0(VALU_DEP_1)
	v_mul_f64_e32 v[18:19], v[10:11], v[12:13]
.LBB41_68:
	s_or_b32 exec_lo, exec_lo, s2
	v_cmp_ne_u32_e32 vcc_lo, 1, v17
	v_cmp_eq_u32_e64 s2, 0, v22
	s_mov_b32 s5, -1
	s_cbranch_vccnz .LBB41_72
; %bb.69:
	v_cvt_f64_f32_e32 v[10:11], s3
	s_cmp_eq_u64 s[20:21], 8
	s_cselect_b32 vcc_lo, -1, 0
	s_delay_alu instid0(VALU_DEP_1) | instskip(NEXT) | instid1(VALU_DEP_1)
	v_dual_cndmask_b32 v11, v11, v15 :: v_dual_cndmask_b32 v10, v10, v14
	v_cmp_le_f64_e32 vcc_lo, v[18:19], v[10:11]
	s_and_b32 s5, s2, vcc_lo
	s_delay_alu instid0(SALU_CYCLE_1)
	s_and_saveexec_b32 s3, s5
	s_cbranch_execz .LBB41_71
; %bb.70:
	v_mov_b32_e32 v17, 0
	s_delay_alu instid0(VALU_DEP_1)
	v_lshl_add_u64 v[10:11], v[16:17], 4, s[8:9]
	global_store_b128 v[10:11], v[2:5], off
	global_wb scope:SCOPE_DEV
	s_wait_storecnt 0x0
	global_inv scope:SCOPE_DEV
.LBB41_71:
	s_wait_xcnt 0x0
	s_or_b32 exec_lo, exec_lo, s3
	s_mov_b32 s5, 0
.LBB41_72:
	s_delay_alu instid0(SALU_CYCLE_1)
	s_and_not1_b32 vcc_lo, exec_lo, s5
	s_cbranch_vccnz .LBB41_83
; %bb.73:
	s_load_b64 s[0:1], s[0:1], 0x48
	v_add_nc_u32_e32 v2, s28, v0
	s_wait_kmcnt 0x0
	v_cmp_ge_f64_e32 vcc_lo, s[0:1], v[18:19]
	s_and_b32 s1, s2, vcc_lo
	s_delay_alu instid0(SALU_CYCLE_1)
	s_and_saveexec_b32 s0, s1
	s_cbranch_execz .LBB41_78
; %bb.74:
	s_mov_b32 s3, exec_lo
	s_brev_b32 s1, -2
.LBB41_75:                              ; =>This Inner Loop Header: Depth=1
	s_ctz_i32_b32 s5, s3
	s_delay_alu instid0(SALU_CYCLE_1) | instskip(SKIP_1) | instid1(SALU_CYCLE_1)
	v_readlane_b32 s6, v2, s5
	s_lshl_b32 s5, 1, s5
	s_and_not1_b32 s3, s3, s5
	s_min_i32 s1, s1, s6
	s_cmp_lg_u32 s3, 0
	s_cbranch_scc1 .LBB41_75
; %bb.76:
	v_mbcnt_lo_u32_b32 v3, exec_lo, 0
	s_mov_b32 s3, exec_lo
	s_delay_alu instid0(VALU_DEP_1)
	v_cmpx_eq_u32_e32 0, v3
	s_xor_b32 s3, exec_lo, s3
	s_cbranch_execz .LBB41_78
; %bb.77:
	v_dual_mov_b32 v3, 0 :: v_dual_mov_b32 v4, s1
	global_atomic_min_i32 v3, v4, s[18:19] scope:SCOPE_DEV
.LBB41_78:
	s_wait_xcnt 0x0
	s_or_b32 exec_lo, exec_lo, s0
	v_cmp_eq_f64_e32 vcc_lo, 0, v[6:7]
	v_cmp_eq_f64_e64 s0, 0, v[8:9]
	s_and_b32 s0, vcc_lo, s0
	s_delay_alu instid0(SALU_CYCLE_1) | instskip(NEXT) | instid1(SALU_CYCLE_1)
	s_and_b32 s0, s2, s0
	s_and_b32 exec_lo, exec_lo, s0
	s_cbranch_execz .LBB41_83
; %bb.79:
	s_mov_b32 s1, exec_lo
	s_brev_b32 s0, -2
.LBB41_80:                              ; =>This Inner Loop Header: Depth=1
	s_ctz_i32_b32 s2, s1
	s_delay_alu instid0(SALU_CYCLE_1) | instskip(SKIP_1) | instid1(SALU_CYCLE_1)
	v_readlane_b32 s3, v2, s2
	s_lshl_b32 s2, 1, s2
	s_and_not1_b32 s1, s1, s2
	s_min_i32 s0, s0, s3
	s_cmp_lg_u32 s1, 0
	s_cbranch_scc1 .LBB41_80
; %bb.81:
	v_mbcnt_lo_u32_b32 v2, exec_lo, 0
	s_mov_b32 s1, exec_lo
	s_delay_alu instid0(VALU_DEP_1)
	v_cmpx_eq_u32_e32 0, v2
	s_xor_b32 s1, exec_lo, s1
	s_cbranch_execz .LBB41_83
; %bb.82:
	v_dual_mov_b32 v2, 0 :: v_dual_mov_b32 v3, s0
	global_atomic_min_i32 v2, v3, s[16:17] scope:SCOPE_DEV
.LBB41_83:
	s_wait_xcnt 0x0
	s_or_b32 exec_lo, exec_lo, s4
	v_cmp_eq_u32_e32 vcc_lo, 0, v22
	global_wb scope:SCOPE_DEV
	s_wait_loadcnt 0x0
	s_wait_storecnt 0x0
	global_inv scope:SCOPE_DEV
	s_and_b32 exec_lo, exec_lo, vcc_lo
	s_cbranch_execz .LBB41_85
; %bb.84:
	v_lshl_add_u64 v[0:1], v[0:1], 2, s[12:13]
	v_mov_b32_e32 v2, 1
	global_wb scope:SCOPE_DEV
	s_wait_loadcnt 0x0
	s_wait_storecnt 0x0
	global_store_b32 v[0:1], v2, off scope:SCOPE_DEV
.LBB41_85:
	s_endpgm
	.section	.rodata,"a",@progbits
	.p2align	6, 0x0
	.amdhsa_kernel _ZN9rocsparseL12csrilu0_hashILj256ELj32ELj2E21rocsparse_complex_numIdEEEviPKiS4_PT2_S4_PiS4_S7_S7_d21rocsparse_index_base_imNS_24const_host_device_scalarIfEENS9_IdEENS9_IS5_EEb
		.amdhsa_group_segment_fixed_size 4096
		.amdhsa_private_segment_fixed_size 16
		.amdhsa_kernarg_size 132
		.amdhsa_user_sgpr_count 2
		.amdhsa_user_sgpr_dispatch_ptr 0
		.amdhsa_user_sgpr_queue_ptr 0
		.amdhsa_user_sgpr_kernarg_segment_ptr 1
		.amdhsa_user_sgpr_dispatch_id 0
		.amdhsa_user_sgpr_kernarg_preload_length 0
		.amdhsa_user_sgpr_kernarg_preload_offset 0
		.amdhsa_user_sgpr_private_segment_size 0
		.amdhsa_wavefront_size32 1
		.amdhsa_uses_dynamic_stack 0
		.amdhsa_enable_private_segment 1
		.amdhsa_system_sgpr_workgroup_id_x 1
		.amdhsa_system_sgpr_workgroup_id_y 0
		.amdhsa_system_sgpr_workgroup_id_z 0
		.amdhsa_system_sgpr_workgroup_info 0
		.amdhsa_system_vgpr_workitem_id 0
		.amdhsa_next_free_vgpr 38
		.amdhsa_next_free_sgpr 40
		.amdhsa_named_barrier_count 0
		.amdhsa_reserve_vcc 1
		.amdhsa_float_round_mode_32 0
		.amdhsa_float_round_mode_16_64 0
		.amdhsa_float_denorm_mode_32 3
		.amdhsa_float_denorm_mode_16_64 3
		.amdhsa_fp16_overflow 0
		.amdhsa_memory_ordered 1
		.amdhsa_forward_progress 1
		.amdhsa_inst_pref_size 28
		.amdhsa_round_robin_scheduling 0
		.amdhsa_exception_fp_ieee_invalid_op 0
		.amdhsa_exception_fp_denorm_src 0
		.amdhsa_exception_fp_ieee_div_zero 0
		.amdhsa_exception_fp_ieee_overflow 0
		.amdhsa_exception_fp_ieee_underflow 0
		.amdhsa_exception_fp_ieee_inexact 0
		.amdhsa_exception_int_div_zero 0
	.end_amdhsa_kernel
	.section	.text._ZN9rocsparseL12csrilu0_hashILj256ELj32ELj2E21rocsparse_complex_numIdEEEviPKiS4_PT2_S4_PiS4_S7_S7_d21rocsparse_index_base_imNS_24const_host_device_scalarIfEENS9_IdEENS9_IS5_EEb,"axG",@progbits,_ZN9rocsparseL12csrilu0_hashILj256ELj32ELj2E21rocsparse_complex_numIdEEEviPKiS4_PT2_S4_PiS4_S7_S7_d21rocsparse_index_base_imNS_24const_host_device_scalarIfEENS9_IdEENS9_IS5_EEb,comdat
.Lfunc_end41:
	.size	_ZN9rocsparseL12csrilu0_hashILj256ELj32ELj2E21rocsparse_complex_numIdEEEviPKiS4_PT2_S4_PiS4_S7_S7_d21rocsparse_index_base_imNS_24const_host_device_scalarIfEENS9_IdEENS9_IS5_EEb, .Lfunc_end41-_ZN9rocsparseL12csrilu0_hashILj256ELj32ELj2E21rocsparse_complex_numIdEEEviPKiS4_PT2_S4_PiS4_S7_S7_d21rocsparse_index_base_imNS_24const_host_device_scalarIfEENS9_IdEENS9_IS5_EEb
                                        ; -- End function
	.set _ZN9rocsparseL12csrilu0_hashILj256ELj32ELj2E21rocsparse_complex_numIdEEEviPKiS4_PT2_S4_PiS4_S7_S7_d21rocsparse_index_base_imNS_24const_host_device_scalarIfEENS9_IdEENS9_IS5_EEb.num_vgpr, 38
	.set _ZN9rocsparseL12csrilu0_hashILj256ELj32ELj2E21rocsparse_complex_numIdEEEviPKiS4_PT2_S4_PiS4_S7_S7_d21rocsparse_index_base_imNS_24const_host_device_scalarIfEENS9_IdEENS9_IS5_EEb.num_agpr, 0
	.set _ZN9rocsparseL12csrilu0_hashILj256ELj32ELj2E21rocsparse_complex_numIdEEEviPKiS4_PT2_S4_PiS4_S7_S7_d21rocsparse_index_base_imNS_24const_host_device_scalarIfEENS9_IdEENS9_IS5_EEb.numbered_sgpr, 40
	.set _ZN9rocsparseL12csrilu0_hashILj256ELj32ELj2E21rocsparse_complex_numIdEEEviPKiS4_PT2_S4_PiS4_S7_S7_d21rocsparse_index_base_imNS_24const_host_device_scalarIfEENS9_IdEENS9_IS5_EEb.num_named_barrier, 0
	.set _ZN9rocsparseL12csrilu0_hashILj256ELj32ELj2E21rocsparse_complex_numIdEEEviPKiS4_PT2_S4_PiS4_S7_S7_d21rocsparse_index_base_imNS_24const_host_device_scalarIfEENS9_IdEENS9_IS5_EEb.private_seg_size, 16
	.set _ZN9rocsparseL12csrilu0_hashILj256ELj32ELj2E21rocsparse_complex_numIdEEEviPKiS4_PT2_S4_PiS4_S7_S7_d21rocsparse_index_base_imNS_24const_host_device_scalarIfEENS9_IdEENS9_IS5_EEb.uses_vcc, 1
	.set _ZN9rocsparseL12csrilu0_hashILj256ELj32ELj2E21rocsparse_complex_numIdEEEviPKiS4_PT2_S4_PiS4_S7_S7_d21rocsparse_index_base_imNS_24const_host_device_scalarIfEENS9_IdEENS9_IS5_EEb.uses_flat_scratch, 0
	.set _ZN9rocsparseL12csrilu0_hashILj256ELj32ELj2E21rocsparse_complex_numIdEEEviPKiS4_PT2_S4_PiS4_S7_S7_d21rocsparse_index_base_imNS_24const_host_device_scalarIfEENS9_IdEENS9_IS5_EEb.has_dyn_sized_stack, 0
	.set _ZN9rocsparseL12csrilu0_hashILj256ELj32ELj2E21rocsparse_complex_numIdEEEviPKiS4_PT2_S4_PiS4_S7_S7_d21rocsparse_index_base_imNS_24const_host_device_scalarIfEENS9_IdEENS9_IS5_EEb.has_recursion, 0
	.set _ZN9rocsparseL12csrilu0_hashILj256ELj32ELj2E21rocsparse_complex_numIdEEEviPKiS4_PT2_S4_PiS4_S7_S7_d21rocsparse_index_base_imNS_24const_host_device_scalarIfEENS9_IdEENS9_IS5_EEb.has_indirect_call, 0
	.section	.AMDGPU.csdata,"",@progbits
; Kernel info:
; codeLenInByte = 3556
; TotalNumSgprs: 42
; NumVgprs: 38
; ScratchSize: 16
; MemoryBound: 0
; FloatMode: 240
; IeeeMode: 1
; LDSByteSize: 4096 bytes/workgroup (compile time only)
; SGPRBlocks: 0
; VGPRBlocks: 2
; NumSGPRsForWavesPerEU: 42
; NumVGPRsForWavesPerEU: 38
; NamedBarCnt: 0
; Occupancy: 16
; WaveLimiterHint : 1
; COMPUTE_PGM_RSRC2:SCRATCH_EN: 1
; COMPUTE_PGM_RSRC2:USER_SGPR: 2
; COMPUTE_PGM_RSRC2:TRAP_HANDLER: 0
; COMPUTE_PGM_RSRC2:TGID_X_EN: 1
; COMPUTE_PGM_RSRC2:TGID_Y_EN: 0
; COMPUTE_PGM_RSRC2:TGID_Z_EN: 0
; COMPUTE_PGM_RSRC2:TIDIG_COMP_CNT: 0
	.section	.text._ZN9rocsparseL12csrilu0_hashILj256ELj32ELj4E21rocsparse_complex_numIdEEEviPKiS4_PT2_S4_PiS4_S7_S7_d21rocsparse_index_base_imNS_24const_host_device_scalarIfEENS9_IdEENS9_IS5_EEb,"axG",@progbits,_ZN9rocsparseL12csrilu0_hashILj256ELj32ELj4E21rocsparse_complex_numIdEEEviPKiS4_PT2_S4_PiS4_S7_S7_d21rocsparse_index_base_imNS_24const_host_device_scalarIfEENS9_IdEENS9_IS5_EEb,comdat
	.globl	_ZN9rocsparseL12csrilu0_hashILj256ELj32ELj4E21rocsparse_complex_numIdEEEviPKiS4_PT2_S4_PiS4_S7_S7_d21rocsparse_index_base_imNS_24const_host_device_scalarIfEENS9_IdEENS9_IS5_EEb ; -- Begin function _ZN9rocsparseL12csrilu0_hashILj256ELj32ELj4E21rocsparse_complex_numIdEEEviPKiS4_PT2_S4_PiS4_S7_S7_d21rocsparse_index_base_imNS_24const_host_device_scalarIfEENS9_IdEENS9_IS5_EEb
	.p2align	8
	.type	_ZN9rocsparseL12csrilu0_hashILj256ELj32ELj4E21rocsparse_complex_numIdEEEviPKiS4_PT2_S4_PiS4_S7_S7_d21rocsparse_index_base_imNS_24const_host_device_scalarIfEENS9_IdEENS9_IS5_EEb,@function
_ZN9rocsparseL12csrilu0_hashILj256ELj32ELj4E21rocsparse_complex_numIdEEEviPKiS4_PT2_S4_PiS4_S7_S7_d21rocsparse_index_base_imNS_24const_host_device_scalarIfEENS9_IdEENS9_IS5_EEb: ; @_ZN9rocsparseL12csrilu0_hashILj256ELj32ELj4E21rocsparse_complex_numIdEEEviPKiS4_PT2_S4_PiS4_S7_S7_d21rocsparse_index_base_imNS_24const_host_device_scalarIfEENS9_IdEENS9_IS5_EEb
; %bb.0:
	s_clause 0x2
	s_load_b96 s[4:6], s[0:1], 0x78
	s_load_b64 s[28:29], s[0:1], 0x50
	s_load_b256 s[20:27], s[0:1], 0x58
	s_wait_kmcnt 0x0
	s_bitcmp1_b32 s6, 0
	s_cselect_b32 s2, -1, 0
	s_cmp_eq_u32 s29, 0
	v_mov_b64_e32 v[2:3], s[26:27]
	s_cselect_b32 s3, -1, 0
	s_cmp_lg_u32 s29, 0
	s_cselect_b32 s8, -1, 0
	s_or_b32 s10, s3, s2
	s_delay_alu instid0(SALU_CYCLE_1)
	s_xor_b32 s9, s10, -1
	s_and_b32 s3, s3, exec_lo
	s_cselect_b32 s7, 0, s25
	s_cselect_b32 s6, 0, s24
	;; [unrolled: 1-line block ×3, first 2 shown]
	s_and_b32 vcc_lo, exec_lo, s10
	scratch_store_b64 off, v[2:3], off
	s_cbranch_vccnz .LBB42_2
; %bb.1:
	s_load_b32 s3, s[22:23], 0x0
	s_mov_b64 s[6:7], s[24:25]
.LBB42_2:
	s_delay_alu instid0(SALU_CYCLE_1)
	v_mov_b64_e32 v[14:15], s[6:7]
	s_and_not1_b32 vcc_lo, exec_lo, s9
	s_cbranch_vccnz .LBB42_4
; %bb.3:
	v_mov_b32_e32 v1, 0
	flat_load_b64 v[14:15], v1, s[24:25]
.LBB42_4:
	v_mov_b64_e32 v[4:5], 0
	s_wait_xcnt 0x0
	v_mov_b64_e32 v[2:3], 0
	v_cndmask_b32_e64 v17, 0, 1, s8
	s_and_not1_b32 vcc_lo, exec_lo, s8
	s_cbranch_vccnz .LBB42_7
; %bb.5:
	v_mbcnt_lo_u32_b32 v1, -1, 0
	v_mov_b32_e32 v2, 0
	v_mov_b64_e32 v[4:5], s[4:5]
	s_delay_alu instid0(VALU_DEP_3) | instskip(NEXT) | instid1(VALU_DEP_1)
	v_lshlrev_b32_e32 v3, 20, v1
	v_add_nc_u64_e32 v[2:3], src_flat_scratch_base_lo, v[2:3]
	s_delay_alu instid0(VALU_DEP_1) | instskip(NEXT) | instid1(VALU_DEP_2)
	v_cndmask_b32_e64 v3, s27, v3, s2
	v_cndmask_b32_e64 v2, s26, v2, s2
	s_xor_b32 s2, s2, -1
	s_delay_alu instid0(SALU_CYCLE_1)
	s_and_not1_b32 vcc_lo, exec_lo, s2
	flat_load_b64 v[2:3], v[2:3]
	s_cbranch_vccnz .LBB42_7
; %bb.6:
	v_mov_b32_e32 v1, 0
	flat_load_b64 v[4:5], v1, s[26:27] offset:8
.LBB42_7:
	s_load_b32 s2, s[0:1], 0x0
	s_bfe_u32 s4, ttmp6, 0x4000c
	v_dual_lshlrev_b32 v1, 2, v0 :: v_dual_bitop2_b32 v22, 31, v0 bitop3:0x40
	s_add_co_i32 s4, s4, 1
	s_and_b32 s5, ttmp6, 15
	s_mul_i32 s4, ttmp9, s4
	s_getreg_b32 s6, hwreg(HW_REG_IB_STS2, 6, 4)
	s_add_co_i32 s5, s5, s4
	s_cmp_eq_u32 s6, 0
	v_and_b32_e32 v8, 0x380, v1
	v_dual_lshrrev_b32 v0, 5, v0 :: v_dual_mov_b32 v6, -1
	s_cselect_b32 s4, ttmp9, s5
	s_delay_alu instid0(SALU_CYCLE_1) | instskip(NEXT) | instid1(VALU_DEP_2)
	s_lshl_b32 s4, s4, 3
	v_lshl_or_b32 v23, v8, 2, 0x1000
	s_delay_alu instid0(VALU_DEP_2) | instskip(NEXT) | instid1(VALU_DEP_2)
	v_and_or_b32 v0, 0x7fffff8, s4, v0
	v_lshl_or_b32 v1, v22, 2, v23
	s_wait_kmcnt 0x0
	s_delay_alu instid0(VALU_DEP_2)
	v_cmp_gt_i32_e32 vcc_lo, s2, v0
	ds_store_2addr_b32 v1, v6, v6 offset1:32
	ds_store_2addr_b32 v1, v6, v6 offset0:64 offset1:96
	s_wait_storecnt 0x0
	s_wait_loadcnt_dscnt 0x0
	s_and_saveexec_b32 s2, vcc_lo
	s_cbranch_execz .LBB42_85
; %bb.8:
	s_load_b512 s[4:19], s[0:1], 0x8
	v_lshlrev_b32_e32 v24, 2, v8
	s_mov_b32 s2, exec_lo
	s_wait_kmcnt 0x0
	global_load_b32 v0, v0, s[14:15] scale_offset
	s_wait_loadcnt 0x0
	v_ashrrev_i32_e32 v1, 31, v0
	s_delay_alu instid0(VALU_DEP_1)
	v_lshl_add_u64 v[6:7], v[0:1], 2, s[4:5]
	global_load_b64 v[10:11], v[6:7], off
	global_load_b32 v16, v0, s[10:11] scale_offset
	s_wait_loadcnt 0x1
	v_subrev_nc_u32_e32 v18, s28, v10
	v_subrev_nc_u32_e32 v6, s28, v11
	s_delay_alu instid0(VALU_DEP_2) | instskip(SKIP_1) | instid1(VALU_DEP_1)
	v_add_nc_u32_e32 v7, v18, v22
	s_wait_xcnt 0x0
	v_cmpx_lt_i32_e64 v7, v6
	s_cbranch_execz .LBB42_31
; %bb.9:
	v_mov_b32_e32 v8, -1
	s_mov_b32 s14, 0
	s_branch .LBB42_11
.LBB42_10:                              ;   in Loop: Header=BB42_11 Depth=1
	s_or_b32 exec_lo, exec_lo, s15
	v_add_nc_u32_e32 v7, 32, v7
	s_delay_alu instid0(VALU_DEP_1) | instskip(SKIP_1) | instid1(SALU_CYCLE_1)
	v_cmp_ge_i32_e32 vcc_lo, v7, v6
	s_or_b32 s14, vcc_lo, s14
	s_and_not1_b32 exec_lo, exec_lo, s14
	s_cbranch_execz .LBB42_31
.LBB42_11:                              ; =>This Loop Header: Depth=1
                                        ;     Child Loop BB42_20 Depth 2
	global_load_b32 v9, v7, s[6:7] scale_offset
	v_mov_b32_e32 v10, 0x80
	s_mov_b32 s15, 0
                                        ; implicit-def: $sgpr22
                                        ; implicit-def: $sgpr23
                                        ; implicit-def: $sgpr24
	s_wait_loadcnt 0x0
	v_mul_lo_u32 v12, 0x67, v9
	s_branch .LBB42_20
.LBB42_12:                              ;   in Loop: Header=BB42_20 Depth=2
	s_or_b32 exec_lo, exec_lo, s36
	s_delay_alu instid0(SALU_CYCLE_1)
	s_or_not1_b32 s34, s34, exec_lo
	s_or_not1_b32 s35, s35, exec_lo
.LBB42_13:                              ;   in Loop: Header=BB42_20 Depth=2
	s_or_b32 exec_lo, exec_lo, s33
	s_delay_alu instid0(SALU_CYCLE_1)
	s_and_b32 s34, s34, exec_lo
	s_or_not1_b32 s33, s35, exec_lo
.LBB42_14:                              ;   in Loop: Header=BB42_20 Depth=2
	s_or_b32 exec_lo, exec_lo, s31
	s_delay_alu instid0(SALU_CYCLE_1)
	s_or_not1_b32 s31, s34, exec_lo
	s_or_not1_b32 s33, s33, exec_lo
.LBB42_15:                              ;   in Loop: Header=BB42_20 Depth=2
	s_or_b32 exec_lo, exec_lo, s30
	s_delay_alu instid0(SALU_CYCLE_1)
	s_and_b32 s31, s31, exec_lo
	s_or_not1_b32 s30, s33, exec_lo
.LBB42_16:                              ;   in Loop: Header=BB42_20 Depth=2
	s_or_b32 exec_lo, exec_lo, s29
	s_delay_alu instid0(SALU_CYCLE_1)
	s_or_not1_b32 s29, s31, exec_lo
	s_or_not1_b32 s30, s30, exec_lo
.LBB42_17:                              ;   in Loop: Header=BB42_20 Depth=2
	s_or_b32 exec_lo, exec_lo, s27
	s_delay_alu instid0(SALU_CYCLE_1)
	s_and_b32 s29, s29, exec_lo
	s_or_not1_b32 s27, s30, exec_lo
.LBB42_18:                              ;   in Loop: Header=BB42_20 Depth=2
	s_or_b32 exec_lo, exec_lo, s26
	s_delay_alu instid0(SALU_CYCLE_1)
	s_and_not1_b32 s24, s24, exec_lo
	s_and_b32 s26, s29, exec_lo
	s_and_not1_b32 s23, s23, exec_lo
	s_and_b32 s27, s27, exec_lo
	s_or_b32 s24, s24, s26
	s_or_b32 s23, s23, s27
.LBB42_19:                              ;   in Loop: Header=BB42_20 Depth=2
	s_or_b32 exec_lo, exec_lo, s25
	s_delay_alu instid0(SALU_CYCLE_1) | instskip(NEXT) | instid1(SALU_CYCLE_1)
	s_and_b32 s25, exec_lo, s23
	s_or_b32 s15, s25, s15
	s_and_not1_b32 s22, s22, exec_lo
	s_and_b32 s25, s24, exec_lo
	s_delay_alu instid0(SALU_CYCLE_1)
	s_or_b32 s22, s22, s25
	s_and_not1_b32 exec_lo, exec_lo, s15
	s_cbranch_execz .LBB42_29
.LBB42_20:                              ;   Parent Loop BB42_11 Depth=1
                                        ; =>  This Inner Loop Header: Depth=2
	s_delay_alu instid0(VALU_DEP_1) | instskip(SKIP_3) | instid1(VALU_DEP_1)
	v_and_b32_e32 v11, 0x7f, v12
	s_or_b32 s24, s24, exec_lo
	s_or_b32 s23, s23, exec_lo
	s_mov_b32 s25, exec_lo
	v_lshl_add_u32 v13, v11, 2, v23
	ds_load_b32 v19, v13
	s_wait_dscnt 0x0
	s_wait_xcnt 0x0
	v_cmpx_ne_u32_e64 v19, v9
	s_cbranch_execz .LBB42_19
; %bb.21:                               ;   in Loop: Header=BB42_20 Depth=2
	ds_cmpstore_rtn_b32 v13, v13, v9, v8
	s_mov_b32 s27, -1
	s_mov_b32 s29, 0
	s_mov_b32 s26, exec_lo
	s_wait_dscnt 0x0
	v_cmpx_ne_u32_e32 -1, v13
	s_cbranch_execz .LBB42_18
; %bb.22:                               ;   in Loop: Header=BB42_20 Depth=2
	v_add_nc_u32_e32 v11, 1, v12
	s_mov_b32 s30, -1
	s_mov_b32 s29, -1
	s_mov_b32 s27, exec_lo
	s_delay_alu instid0(VALU_DEP_1) | instskip(NEXT) | instid1(VALU_DEP_1)
	v_and_b32_e32 v11, 0x7f, v11
	v_lshl_add_u32 v13, v11, 2, v23
	ds_load_b32 v19, v13
	s_wait_dscnt 0x0
	v_cmpx_ne_u32_e64 v19, v9
	s_cbranch_execz .LBB42_17
; %bb.23:                               ;   in Loop: Header=BB42_20 Depth=2
	ds_cmpstore_rtn_b32 v13, v13, v9, v8
	s_mov_b32 s31, 0
	s_mov_b32 s29, exec_lo
	s_wait_dscnt 0x0
	v_cmpx_ne_u32_e32 -1, v13
	s_cbranch_execz .LBB42_16
; %bb.24:                               ;   in Loop: Header=BB42_20 Depth=2
	v_add_nc_u32_e32 v11, 2, v12
	s_mov_b32 s33, -1
	s_mov_b32 s31, -1
	s_mov_b32 s30, exec_lo
	s_delay_alu instid0(VALU_DEP_1) | instskip(NEXT) | instid1(VALU_DEP_1)
	v_and_b32_e32 v11, 0x7f, v11
	v_lshl_add_u32 v13, v11, 2, v23
	ds_load_b32 v19, v13
	s_wait_dscnt 0x0
	v_cmpx_ne_u32_e64 v19, v9
	s_cbranch_execz .LBB42_15
; %bb.25:                               ;   in Loop: Header=BB42_20 Depth=2
	ds_cmpstore_rtn_b32 v13, v13, v9, v8
	s_mov_b32 s34, 0
	s_mov_b32 s31, exec_lo
	s_wait_dscnt 0x0
	v_cmpx_ne_u32_e32 -1, v13
	s_cbranch_execz .LBB42_14
; %bb.26:                               ;   in Loop: Header=BB42_20 Depth=2
	v_add_nc_u32_e32 v11, 3, v12
	s_mov_b32 s35, -1
	s_mov_b32 s34, -1
	s_delay_alu instid0(VALU_DEP_1) | instskip(NEXT) | instid1(VALU_DEP_1)
	v_and_b32_e32 v11, 0x7f, v11
	v_lshl_add_u32 v13, v11, 2, v23
	ds_load_b32 v12, v13
	s_wait_dscnt 0x0
	v_cmp_ne_u32_e32 vcc_lo, v12, v9
                                        ; implicit-def: $vgpr12
	s_and_saveexec_b32 s33, vcc_lo
	s_cbranch_execz .LBB42_13
; %bb.27:                               ;   in Loop: Header=BB42_20 Depth=2
	ds_cmpstore_rtn_b32 v12, v13, v9, v8
	s_mov_b32 s34, 0
	s_wait_dscnt 0x0
	v_cmp_ne_u32_e32 vcc_lo, -1, v12
                                        ; implicit-def: $vgpr12
	s_and_saveexec_b32 s36, vcc_lo
	s_cbranch_execz .LBB42_12
; %bb.28:                               ;   in Loop: Header=BB42_20 Depth=2
	v_dual_add_nc_u32 v10, -4, v10 :: v_dual_add_nc_u32 v12, 1, v11
	s_mov_b32 s34, exec_lo
	s_delay_alu instid0(VALU_DEP_1)
	v_cmp_eq_u32_e32 vcc_lo, 0, v10
	s_or_not1_b32 s35, vcc_lo, exec_lo
	s_branch .LBB42_12
.LBB42_29:                              ;   in Loop: Header=BB42_11 Depth=1
	s_or_b32 exec_lo, exec_lo, s15
	s_xor_b32 s15, s22, -1
	s_delay_alu instid0(SALU_CYCLE_1) | instskip(NEXT) | instid1(SALU_CYCLE_1)
	s_and_saveexec_b32 s22, s15
	s_xor_b32 s15, exec_lo, s22
	s_cbranch_execz .LBB42_10
; %bb.30:                               ;   in Loop: Header=BB42_11 Depth=1
	v_lshl_add_u32 v9, v11, 2, v24
	ds_store_b32 v9, v7
	s_branch .LBB42_10
.LBB42_31:
	s_or_b32 exec_lo, exec_lo, s2
	s_delay_alu instid0(SALU_CYCLE_1)
	s_mov_b32 s14, exec_lo
	s_wait_loadcnt_dscnt 0x0
	v_cmpx_lt_i32_e64 v18, v16
	s_cbranch_execz .LBB42_61
; %bb.32:
	v_add_nc_u32_e32 v25, 1, v22
	s_mov_b32 s15, 0
	s_branch .LBB42_35
.LBB42_33:                              ;   in Loop: Header=BB42_35 Depth=1
	s_or_b32 exec_lo, exec_lo, s22
	v_add_nc_u32_e32 v18, 1, v18
	s_delay_alu instid0(VALU_DEP_1)
	v_cmp_ge_i32_e32 vcc_lo, v18, v16
	s_or_not1_b32 s22, vcc_lo, exec_lo
.LBB42_34:                              ;   in Loop: Header=BB42_35 Depth=1
	s_or_b32 exec_lo, exec_lo, s2
	s_delay_alu instid0(SALU_CYCLE_1) | instskip(NEXT) | instid1(SALU_CYCLE_1)
	s_and_b32 s2, exec_lo, s22
	s_or_b32 s15, s2, s15
	s_delay_alu instid0(SALU_CYCLE_1)
	s_and_not1_b32 exec_lo, exec_lo, s15
	s_cbranch_execz .LBB42_61
.LBB42_35:                              ; =>This Loop Header: Depth=1
                                        ;     Child Loop BB42_36 Depth 2
                                        ;     Child Loop BB42_41 Depth 2
                                        ;       Child Loop BB42_50 Depth 3
	s_clause 0x1
	global_load_b32 v10, v18, s[6:7] scale_offset
	global_load_b128 v[6:9], v18, s[8:9] scale_offset
	v_ashrrev_i32_e32 v19, 31, v18
	s_mov_b32 s2, 0
	s_delay_alu instid0(VALU_DEP_1)
	v_lshl_add_u64 v[20:21], v[18:19], 4, s[8:9]
	s_wait_loadcnt 0x1
	v_subrev_nc_u32_e32 v10, s28, v10
	s_clause 0x1
	global_load_b32 v13, v10, s[4:5] offset:4 scale_offset
	global_load_b32 v12, v10, s[10:11] scale_offset
	v_ashrrev_i32_e32 v11, 31, v10
	s_wait_xcnt 0x0
	s_delay_alu instid0(VALU_DEP_1)
	v_lshl_add_u64 v[10:11], v[10:11], 2, s[12:13]
.LBB42_36:                              ;   Parent Loop BB42_35 Depth=1
                                        ; =>  This Inner Loop Header: Depth=2
	global_load_b32 v19, v[10:11], off scope:SCOPE_DEV
	s_wait_loadcnt 0x0
	v_cmp_ne_u32_e32 vcc_lo, 0, v19
	s_or_b32 s2, vcc_lo, s2
	s_wait_xcnt 0x0
	s_and_not1_b32 exec_lo, exec_lo, s2
	s_cbranch_execnz .LBB42_36
; %bb.37:                               ;   in Loop: Header=BB42_35 Depth=1
	s_or_b32 exec_lo, exec_lo, s2
	v_subrev_nc_u32_e32 v19, s28, v13
	v_cmp_eq_u32_e32 vcc_lo, -1, v12
	global_inv scope:SCOPE_DEV
	s_mov_b32 s22, -1
	v_add_nc_u32_e32 v10, -1, v19
	s_delay_alu instid0(VALU_DEP_1)
	v_cndmask_b32_e32 v26, v12, v10, vcc_lo
	global_load_b128 v[10:13], v26, s[8:9] scale_offset
	s_wait_loadcnt 0x0
	v_cmp_neq_f64_e32 vcc_lo, 0, v[10:11]
	v_cmp_neq_f64_e64 s2, 0, v[12:13]
	s_or_b32 s23, vcc_lo, s2
	s_wait_xcnt 0x0
	s_and_saveexec_b32 s2, s23
	s_cbranch_execz .LBB42_34
; %bb.38:                               ;   in Loop: Header=BB42_35 Depth=1
	v_mul_f64_e32 v[28:29], v[12:13], v[12:13]
	s_mov_b32 s22, exec_lo
	s_delay_alu instid0(VALU_DEP_1) | instskip(NEXT) | instid1(VALU_DEP_1)
	v_fmac_f64_e32 v[28:29], v[10:11], v[10:11]
	v_div_scale_f64 v[30:31], null, v[28:29], v[28:29], 1.0
	v_div_scale_f64 v[36:37], vcc_lo, 1.0, v[28:29], 1.0
	s_delay_alu instid0(VALU_DEP_2) | instskip(SKIP_1) | instid1(TRANS32_DEP_1)
	v_rcp_f64_e32 v[32:33], v[30:31]
	v_nop
	v_fma_f64 v[34:35], -v[30:31], v[32:33], 1.0
	s_delay_alu instid0(VALU_DEP_1) | instskip(NEXT) | instid1(VALU_DEP_1)
	v_fmac_f64_e32 v[32:33], v[32:33], v[34:35]
	v_fma_f64 v[34:35], -v[30:31], v[32:33], 1.0
	s_delay_alu instid0(VALU_DEP_1) | instskip(NEXT) | instid1(VALU_DEP_1)
	v_fmac_f64_e32 v[32:33], v[32:33], v[34:35]
	v_mul_f64_e32 v[34:35], v[36:37], v[32:33]
	s_delay_alu instid0(VALU_DEP_1) | instskip(SKIP_2) | instid1(VALU_DEP_3)
	v_fma_f64 v[30:31], -v[30:31], v[34:35], v[36:37]
	v_mul_f64_e32 v[36:37], v[8:9], v[12:13]
	v_mul_f64_e64 v[12:13], v[12:13], -v[6:7]
	v_div_fmas_f64 v[30:31], v[30:31], v[32:33], v[34:35]
	s_delay_alu instid0(VALU_DEP_3) | instskip(NEXT) | instid1(VALU_DEP_3)
	v_fmac_f64_e32 v[36:37], v[6:7], v[10:11]
	v_fmac_f64_e32 v[12:13], v[8:9], v[10:11]
	v_add_nc_u32_e32 v10, v25, v26
	s_delay_alu instid0(VALU_DEP_4) | instskip(NEXT) | instid1(VALU_DEP_1)
	v_div_fixup_f64 v[28:29], v[30:31], v[28:29], 1.0
	v_mul_f64_e32 v[6:7], v[36:37], v[28:29]
	s_delay_alu instid0(VALU_DEP_4)
	v_mul_f64_e32 v[8:9], v[12:13], v[28:29]
	global_store_b128 v[20:21], v[6:9], off
	s_wait_xcnt 0x0
	v_cmpx_lt_i32_e64 v10, v19
	s_cbranch_execz .LBB42_33
; %bb.39:                               ;   in Loop: Header=BB42_35 Depth=1
	s_mov_b32 s23, 0
	s_branch .LBB42_41
.LBB42_40:                              ;   in Loop: Header=BB42_41 Depth=2
	s_wait_xcnt 0x0
	s_or_b32 exec_lo, exec_lo, s24
	v_add_nc_u32_e32 v10, 32, v10
	s_delay_alu instid0(VALU_DEP_1) | instskip(SKIP_1) | instid1(SALU_CYCLE_1)
	v_cmp_ge_i32_e32 vcc_lo, v10, v19
	s_or_b32 s23, vcc_lo, s23
	s_and_not1_b32 exec_lo, exec_lo, s23
	s_cbranch_execz .LBB42_33
.LBB42_41:                              ;   Parent Loop BB42_35 Depth=1
                                        ; =>  This Loop Header: Depth=2
                                        ;       Child Loop BB42_50 Depth 3
	global_load_b32 v12, v10, s[6:7] scale_offset
	v_ashrrev_i32_e32 v11, 31, v10
	v_mov_b32_e32 v13, 0x80
	s_mov_b32 s24, 0
                                        ; implicit-def: $sgpr25
                                        ; implicit-def: $sgpr26
                                        ; implicit-def: $sgpr27
	s_wait_loadcnt 0x0
	v_mul_lo_u32 v21, 0x67, v12
	s_branch .LBB42_50
.LBB42_42:                              ;   in Loop: Header=BB42_50 Depth=3
	s_or_b32 exec_lo, exec_lo, s39
	s_delay_alu instid0(SALU_CYCLE_1)
	s_or_not1_b32 s37, s37, exec_lo
	s_or_not1_b32 s38, s38, exec_lo
.LBB42_43:                              ;   in Loop: Header=BB42_50 Depth=3
	s_or_b32 exec_lo, exec_lo, s36
	s_delay_alu instid0(SALU_CYCLE_1)
	s_and_b32 s37, s37, exec_lo
	s_or_not1_b32 s36, s38, exec_lo
.LBB42_44:                              ;   in Loop: Header=BB42_50 Depth=3
	s_or_b32 exec_lo, exec_lo, s35
	s_delay_alu instid0(SALU_CYCLE_1)
	s_or_not1_b32 s35, s37, exec_lo
	s_or_not1_b32 s36, s36, exec_lo
.LBB42_45:                              ;   in Loop: Header=BB42_50 Depth=3
	s_or_b32 exec_lo, exec_lo, s34
	s_delay_alu instid0(SALU_CYCLE_1)
	s_and_b32 s35, s35, exec_lo
	s_or_not1_b32 s34, s36, exec_lo
.LBB42_46:                              ;   in Loop: Header=BB42_50 Depth=3
	s_or_b32 exec_lo, exec_lo, s33
	s_delay_alu instid0(SALU_CYCLE_1)
	s_or_not1_b32 s33, s35, exec_lo
	s_or_not1_b32 s34, s34, exec_lo
.LBB42_47:                              ;   in Loop: Header=BB42_50 Depth=3
	s_or_b32 exec_lo, exec_lo, s31
	s_delay_alu instid0(SALU_CYCLE_1)
	s_and_b32 s33, s33, exec_lo
	s_or_not1_b32 s31, s34, exec_lo
.LBB42_48:                              ;   in Loop: Header=BB42_50 Depth=3
	s_or_b32 exec_lo, exec_lo, s30
	s_delay_alu instid0(SALU_CYCLE_1)
	s_and_not1_b32 s27, s27, exec_lo
	s_and_b32 s30, s33, exec_lo
	s_and_not1_b32 s26, s26, exec_lo
	s_and_b32 s31, s31, exec_lo
	s_or_b32 s27, s27, s30
	s_or_b32 s26, s26, s31
.LBB42_49:                              ;   in Loop: Header=BB42_50 Depth=3
	s_or_b32 exec_lo, exec_lo, s29
	s_delay_alu instid0(SALU_CYCLE_1) | instskip(NEXT) | instid1(SALU_CYCLE_1)
	s_and_b32 s29, exec_lo, s26
	s_or_b32 s24, s29, s24
	s_and_not1_b32 s25, s25, exec_lo
	s_and_b32 s29, s27, exec_lo
	s_delay_alu instid0(SALU_CYCLE_1)
	s_or_b32 s25, s25, s29
	s_and_not1_b32 exec_lo, exec_lo, s24
	s_cbranch_execz .LBB42_59
.LBB42_50:                              ;   Parent Loop BB42_35 Depth=1
                                        ;     Parent Loop BB42_41 Depth=2
                                        ; =>    This Inner Loop Header: Depth=3
	s_delay_alu instid0(VALU_DEP_1) | instskip(SKIP_3) | instid1(VALU_DEP_1)
	v_and_b32_e32 v20, 0x7f, v21
	s_or_b32 s27, s27, exec_lo
	s_or_b32 s26, s26, exec_lo
	s_mov_b32 s29, exec_lo
	v_lshl_add_u32 v26, v20, 2, v23
	ds_load_b32 v26, v26
	s_wait_dscnt 0x0
	s_wait_xcnt 0x0
	v_cmpx_ne_u32_e32 -1, v26
	s_cbranch_execz .LBB42_49
; %bb.51:                               ;   in Loop: Header=BB42_50 Depth=3
	s_mov_b32 s31, -1
	s_mov_b32 s33, 0
	s_mov_b32 s30, exec_lo
	v_cmpx_ne_u32_e64 v26, v12
	s_cbranch_execz .LBB42_48
; %bb.52:                               ;   in Loop: Header=BB42_50 Depth=3
	v_add_nc_u32_e32 v20, 1, v21
	s_mov_b32 s34, -1
	s_mov_b32 s33, -1
	s_mov_b32 s31, exec_lo
	s_delay_alu instid0(VALU_DEP_1) | instskip(NEXT) | instid1(VALU_DEP_1)
	v_and_b32_e32 v20, 0x7f, v20
	v_lshl_add_u32 v26, v20, 2, v23
	ds_load_b32 v26, v26
	s_wait_dscnt 0x0
	v_cmpx_ne_u32_e32 -1, v26
	s_cbranch_execz .LBB42_47
; %bb.53:                               ;   in Loop: Header=BB42_50 Depth=3
	s_mov_b32 s35, 0
	s_mov_b32 s33, exec_lo
	v_cmpx_ne_u32_e64 v26, v12
	s_cbranch_execz .LBB42_46
; %bb.54:                               ;   in Loop: Header=BB42_50 Depth=3
	v_add_nc_u32_e32 v20, 2, v21
	s_mov_b32 s36, -1
	s_mov_b32 s35, -1
	s_mov_b32 s34, exec_lo
	s_delay_alu instid0(VALU_DEP_1) | instskip(NEXT) | instid1(VALU_DEP_1)
	v_and_b32_e32 v20, 0x7f, v20
	v_lshl_add_u32 v26, v20, 2, v23
	ds_load_b32 v26, v26
	s_wait_dscnt 0x0
	v_cmpx_ne_u32_e32 -1, v26
	s_cbranch_execz .LBB42_45
; %bb.55:                               ;   in Loop: Header=BB42_50 Depth=3
	s_mov_b32 s37, 0
	s_mov_b32 s35, exec_lo
	v_cmpx_ne_u32_e64 v26, v12
	s_cbranch_execz .LBB42_44
; %bb.56:                               ;   in Loop: Header=BB42_50 Depth=3
	v_add_nc_u32_e32 v20, 3, v21
	s_mov_b32 s38, -1
	s_mov_b32 s37, -1
	s_mov_b32 s36, exec_lo
	s_delay_alu instid0(VALU_DEP_1) | instskip(NEXT) | instid1(VALU_DEP_1)
	v_and_b32_e32 v20, 0x7f, v20
	v_lshl_add_u32 v21, v20, 2, v23
	ds_load_b32 v26, v21
                                        ; implicit-def: $vgpr21
	s_wait_dscnt 0x0
	v_cmpx_ne_u32_e32 -1, v26
	s_cbranch_execz .LBB42_43
; %bb.57:                               ;   in Loop: Header=BB42_50 Depth=3
	s_mov_b32 s37, 0
	s_mov_b32 s39, exec_lo
                                        ; implicit-def: $vgpr21
	v_cmpx_ne_u32_e64 v26, v12
	s_cbranch_execz .LBB42_42
; %bb.58:                               ;   in Loop: Header=BB42_50 Depth=3
	v_dual_add_nc_u32 v13, -4, v13 :: v_dual_add_nc_u32 v21, 1, v20
	s_mov_b32 s37, exec_lo
	s_delay_alu instid0(VALU_DEP_1)
	v_cmp_eq_u32_e32 vcc_lo, 0, v13
	s_or_not1_b32 s38, vcc_lo, exec_lo
	s_branch .LBB42_42
.LBB42_59:                              ;   in Loop: Header=BB42_41 Depth=2
	s_or_b32 exec_lo, exec_lo, s24
	s_xor_b32 s24, s25, -1
	s_delay_alu instid0(SALU_CYCLE_1) | instskip(NEXT) | instid1(SALU_CYCLE_1)
	s_and_saveexec_b32 s25, s24
	s_xor_b32 s24, exec_lo, s25
	s_cbranch_execz .LBB42_40
; %bb.60:                               ;   in Loop: Header=BB42_41 Depth=2
	v_lshl_add_u32 v12, v20, 2, v24
	ds_load_b32 v20, v12
	v_lshl_add_u64 v[12:13], v[10:11], 4, s[8:9]
	global_load_b128 v[26:29], v[12:13], off
	s_wait_dscnt 0x0
	global_load_b128 v[30:33], v20, s[8:9] scale_offset
	s_wait_loadcnt 0x0
	v_fma_f64 v[30:31], -v[6:7], v[26:27], v[30:31]
	s_wait_xcnt 0x1
	v_fma_f64 v[12:13], -v[8:9], v[26:27], v[32:33]
	s_delay_alu instid0(VALU_DEP_2) | instskip(NEXT) | instid1(VALU_DEP_2)
	v_fmac_f64_e32 v[30:31], v[8:9], v[28:29]
	v_fma_f64 v[32:33], -v[6:7], v[28:29], v[12:13]
	global_store_b128 v20, v[30:33], s[8:9] scale_offset
	s_branch .LBB42_40
.LBB42_61:
	s_or_b32 exec_lo, exec_lo, s14
	s_delay_alu instid0(SALU_CYCLE_1)
	s_mov_b32 s4, exec_lo
	s_wait_storecnt 0x0
	v_cmpx_lt_i32_e32 -1, v16
	s_cbranch_execz .LBB42_83
; %bb.62:
	global_load_b128 v[6:9], v16, s[8:9] scale_offset
	s_mov_b32 s2, exec_lo
                                        ; implicit-def: $vgpr18_vgpr19
	s_wait_loadcnt 0x0
	v_cmp_gt_f64_e32 vcc_lo, 0, v[6:7]
	v_xor_b32_e32 v11, 0x80000000, v7
	v_mov_b32_e32 v10, v6
	v_xor_b32_e32 v12, 0x80000000, v9
	s_delay_alu instid0(VALU_DEP_3) | instskip(SKIP_1) | instid1(VALU_DEP_3)
	v_cndmask_b32_e32 v11, v7, v11, vcc_lo
	v_cmp_gt_f64_e32 vcc_lo, 0, v[8:9]
	v_dual_cndmask_b32 v13, v9, v12 :: v_dual_mov_b32 v12, v8
	s_delay_alu instid0(VALU_DEP_1)
	v_cmpx_ngt_f64_e32 v[10:11], v[12:13]
	s_xor_b32 s2, exec_lo, s2
	s_cbranch_execz .LBB42_66
; %bb.63:
	v_mov_b64_e32 v[18:19], 0
	s_mov_b32 s5, exec_lo
	v_cmpx_neq_f64_e32 0, v[8:9]
	s_cbranch_execz .LBB42_65
; %bb.64:
	v_div_scale_f64 v[18:19], null, v[12:13], v[12:13], v[10:11]
	v_div_scale_f64 v[26:27], vcc_lo, v[10:11], v[12:13], v[10:11]
	s_delay_alu instid0(VALU_DEP_2) | instskip(SKIP_1) | instid1(TRANS32_DEP_1)
	v_rcp_f64_e32 v[20:21], v[18:19]
	v_nop
	v_fma_f64 v[24:25], -v[18:19], v[20:21], 1.0
	s_delay_alu instid0(VALU_DEP_1) | instskip(NEXT) | instid1(VALU_DEP_1)
	v_fmac_f64_e32 v[20:21], v[20:21], v[24:25]
	v_fma_f64 v[24:25], -v[18:19], v[20:21], 1.0
	s_delay_alu instid0(VALU_DEP_1) | instskip(NEXT) | instid1(VALU_DEP_1)
	v_fmac_f64_e32 v[20:21], v[20:21], v[24:25]
	v_mul_f64_e32 v[24:25], v[26:27], v[20:21]
	s_delay_alu instid0(VALU_DEP_1) | instskip(NEXT) | instid1(VALU_DEP_1)
	v_fma_f64 v[18:19], -v[18:19], v[24:25], v[26:27]
	v_div_fmas_f64 v[18:19], v[18:19], v[20:21], v[24:25]
	s_delay_alu instid0(VALU_DEP_1) | instskip(NEXT) | instid1(VALU_DEP_1)
	v_div_fixup_f64 v[10:11], v[18:19], v[12:13], v[10:11]
	v_fma_f64 v[10:11], v[10:11], v[10:11], 1.0
	s_delay_alu instid0(VALU_DEP_1) | instskip(SKIP_1) | instid1(VALU_DEP_1)
	v_cmp_gt_f64_e32 vcc_lo, 0x10000000, v[10:11]
	v_cndmask_b32_e64 v18, 0, 0x100, vcc_lo
	v_ldexp_f64 v[10:11], v[10:11], v18
	s_delay_alu instid0(VALU_DEP_1) | instskip(SKIP_1) | instid1(TRANS32_DEP_1)
	v_rsq_f64_e32 v[18:19], v[10:11]
	v_nop
	v_mul_f64_e32 v[20:21], v[10:11], v[18:19]
	v_mul_f64_e32 v[18:19], 0.5, v[18:19]
	s_delay_alu instid0(VALU_DEP_1) | instskip(NEXT) | instid1(VALU_DEP_1)
	v_fma_f64 v[24:25], -v[18:19], v[20:21], 0.5
	v_fmac_f64_e32 v[20:21], v[20:21], v[24:25]
	v_fmac_f64_e32 v[18:19], v[18:19], v[24:25]
	s_delay_alu instid0(VALU_DEP_2) | instskip(NEXT) | instid1(VALU_DEP_1)
	v_fma_f64 v[24:25], -v[20:21], v[20:21], v[10:11]
	v_fmac_f64_e32 v[20:21], v[24:25], v[18:19]
	s_delay_alu instid0(VALU_DEP_1) | instskip(NEXT) | instid1(VALU_DEP_1)
	v_fma_f64 v[24:25], -v[20:21], v[20:21], v[10:11]
	v_fmac_f64_e32 v[20:21], v[24:25], v[18:19]
	v_cndmask_b32_e64 v18, 0, 0xffffff80, vcc_lo
	v_cmp_class_f64_e64 vcc_lo, v[10:11], 0x260
	s_delay_alu instid0(VALU_DEP_2) | instskip(NEXT) | instid1(VALU_DEP_1)
	v_ldexp_f64 v[18:19], v[20:21], v18
	v_dual_cndmask_b32 v11, v19, v11 :: v_dual_cndmask_b32 v10, v18, v10
	s_delay_alu instid0(VALU_DEP_1)
	v_mul_f64_e32 v[18:19], v[12:13], v[10:11]
.LBB42_65:
	s_or_b32 exec_lo, exec_lo, s5
                                        ; implicit-def: $vgpr10_vgpr11
                                        ; implicit-def: $vgpr12_vgpr13
.LBB42_66:
	s_and_not1_saveexec_b32 s2, s2
	s_cbranch_execz .LBB42_68
; %bb.67:
	v_div_scale_f64 v[18:19], null, v[10:11], v[10:11], v[12:13]
	v_div_scale_f64 v[26:27], vcc_lo, v[12:13], v[10:11], v[12:13]
	s_delay_alu instid0(VALU_DEP_2) | instskip(SKIP_1) | instid1(TRANS32_DEP_1)
	v_rcp_f64_e32 v[20:21], v[18:19]
	v_nop
	v_fma_f64 v[24:25], -v[18:19], v[20:21], 1.0
	s_delay_alu instid0(VALU_DEP_1) | instskip(NEXT) | instid1(VALU_DEP_1)
	v_fmac_f64_e32 v[20:21], v[20:21], v[24:25]
	v_fma_f64 v[24:25], -v[18:19], v[20:21], 1.0
	s_delay_alu instid0(VALU_DEP_1) | instskip(NEXT) | instid1(VALU_DEP_1)
	v_fmac_f64_e32 v[20:21], v[20:21], v[24:25]
	v_mul_f64_e32 v[24:25], v[26:27], v[20:21]
	s_delay_alu instid0(VALU_DEP_1) | instskip(NEXT) | instid1(VALU_DEP_1)
	v_fma_f64 v[18:19], -v[18:19], v[24:25], v[26:27]
	v_div_fmas_f64 v[18:19], v[18:19], v[20:21], v[24:25]
	s_delay_alu instid0(VALU_DEP_1) | instskip(NEXT) | instid1(VALU_DEP_1)
	v_div_fixup_f64 v[12:13], v[18:19], v[10:11], v[12:13]
	v_fma_f64 v[12:13], v[12:13], v[12:13], 1.0
	s_delay_alu instid0(VALU_DEP_1) | instskip(SKIP_1) | instid1(VALU_DEP_1)
	v_cmp_gt_f64_e32 vcc_lo, 0x10000000, v[12:13]
	v_cndmask_b32_e64 v18, 0, 0x100, vcc_lo
	v_ldexp_f64 v[12:13], v[12:13], v18
	s_delay_alu instid0(VALU_DEP_1) | instskip(SKIP_1) | instid1(TRANS32_DEP_1)
	v_rsq_f64_e32 v[18:19], v[12:13]
	v_nop
	v_mul_f64_e32 v[20:21], v[12:13], v[18:19]
	v_mul_f64_e32 v[18:19], 0.5, v[18:19]
	s_delay_alu instid0(VALU_DEP_1) | instskip(NEXT) | instid1(VALU_DEP_1)
	v_fma_f64 v[24:25], -v[18:19], v[20:21], 0.5
	v_fmac_f64_e32 v[20:21], v[20:21], v[24:25]
	v_fmac_f64_e32 v[18:19], v[18:19], v[24:25]
	s_delay_alu instid0(VALU_DEP_2) | instskip(NEXT) | instid1(VALU_DEP_1)
	v_fma_f64 v[24:25], -v[20:21], v[20:21], v[12:13]
	v_fmac_f64_e32 v[20:21], v[24:25], v[18:19]
	s_delay_alu instid0(VALU_DEP_1) | instskip(NEXT) | instid1(VALU_DEP_1)
	v_fma_f64 v[24:25], -v[20:21], v[20:21], v[12:13]
	v_fmac_f64_e32 v[20:21], v[24:25], v[18:19]
	v_cndmask_b32_e64 v18, 0, 0xffffff80, vcc_lo
	v_cmp_class_f64_e64 vcc_lo, v[12:13], 0x260
	s_delay_alu instid0(VALU_DEP_2) | instskip(NEXT) | instid1(VALU_DEP_1)
	v_ldexp_f64 v[18:19], v[20:21], v18
	v_dual_cndmask_b32 v13, v19, v13 :: v_dual_cndmask_b32 v12, v18, v12
	s_delay_alu instid0(VALU_DEP_1)
	v_mul_f64_e32 v[18:19], v[10:11], v[12:13]
.LBB42_68:
	s_or_b32 exec_lo, exec_lo, s2
	v_cmp_ne_u32_e32 vcc_lo, 1, v17
	v_cmp_eq_u32_e64 s2, 0, v22
	s_mov_b32 s5, -1
	s_cbranch_vccnz .LBB42_72
; %bb.69:
	v_cvt_f64_f32_e32 v[10:11], s3
	s_cmp_eq_u64 s[20:21], 8
	s_cselect_b32 vcc_lo, -1, 0
	s_delay_alu instid0(VALU_DEP_1) | instskip(NEXT) | instid1(VALU_DEP_1)
	v_dual_cndmask_b32 v11, v11, v15 :: v_dual_cndmask_b32 v10, v10, v14
	v_cmp_le_f64_e32 vcc_lo, v[18:19], v[10:11]
	s_and_b32 s5, s2, vcc_lo
	s_delay_alu instid0(SALU_CYCLE_1)
	s_and_saveexec_b32 s3, s5
	s_cbranch_execz .LBB42_71
; %bb.70:
	v_mov_b32_e32 v17, 0
	s_delay_alu instid0(VALU_DEP_1)
	v_lshl_add_u64 v[10:11], v[16:17], 4, s[8:9]
	global_store_b128 v[10:11], v[2:5], off
	global_wb scope:SCOPE_DEV
	s_wait_storecnt 0x0
	global_inv scope:SCOPE_DEV
.LBB42_71:
	s_wait_xcnt 0x0
	s_or_b32 exec_lo, exec_lo, s3
	s_mov_b32 s5, 0
.LBB42_72:
	s_delay_alu instid0(SALU_CYCLE_1)
	s_and_not1_b32 vcc_lo, exec_lo, s5
	s_cbranch_vccnz .LBB42_83
; %bb.73:
	s_load_b64 s[0:1], s[0:1], 0x48
	v_add_nc_u32_e32 v2, s28, v0
	s_wait_kmcnt 0x0
	v_cmp_ge_f64_e32 vcc_lo, s[0:1], v[18:19]
	s_and_b32 s1, s2, vcc_lo
	s_delay_alu instid0(SALU_CYCLE_1)
	s_and_saveexec_b32 s0, s1
	s_cbranch_execz .LBB42_78
; %bb.74:
	s_mov_b32 s3, exec_lo
	s_brev_b32 s1, -2
.LBB42_75:                              ; =>This Inner Loop Header: Depth=1
	s_ctz_i32_b32 s5, s3
	s_delay_alu instid0(SALU_CYCLE_1) | instskip(SKIP_1) | instid1(SALU_CYCLE_1)
	v_readlane_b32 s6, v2, s5
	s_lshl_b32 s5, 1, s5
	s_and_not1_b32 s3, s3, s5
	s_min_i32 s1, s1, s6
	s_cmp_lg_u32 s3, 0
	s_cbranch_scc1 .LBB42_75
; %bb.76:
	v_mbcnt_lo_u32_b32 v3, exec_lo, 0
	s_mov_b32 s3, exec_lo
	s_delay_alu instid0(VALU_DEP_1)
	v_cmpx_eq_u32_e32 0, v3
	s_xor_b32 s3, exec_lo, s3
	s_cbranch_execz .LBB42_78
; %bb.77:
	v_dual_mov_b32 v3, 0 :: v_dual_mov_b32 v4, s1
	global_atomic_min_i32 v3, v4, s[18:19] scope:SCOPE_DEV
.LBB42_78:
	s_wait_xcnt 0x0
	s_or_b32 exec_lo, exec_lo, s0
	v_cmp_eq_f64_e32 vcc_lo, 0, v[6:7]
	v_cmp_eq_f64_e64 s0, 0, v[8:9]
	s_and_b32 s0, vcc_lo, s0
	s_delay_alu instid0(SALU_CYCLE_1) | instskip(NEXT) | instid1(SALU_CYCLE_1)
	s_and_b32 s0, s2, s0
	s_and_b32 exec_lo, exec_lo, s0
	s_cbranch_execz .LBB42_83
; %bb.79:
	s_mov_b32 s1, exec_lo
	s_brev_b32 s0, -2
.LBB42_80:                              ; =>This Inner Loop Header: Depth=1
	s_ctz_i32_b32 s2, s1
	s_delay_alu instid0(SALU_CYCLE_1) | instskip(SKIP_1) | instid1(SALU_CYCLE_1)
	v_readlane_b32 s3, v2, s2
	s_lshl_b32 s2, 1, s2
	s_and_not1_b32 s1, s1, s2
	s_min_i32 s0, s0, s3
	s_cmp_lg_u32 s1, 0
	s_cbranch_scc1 .LBB42_80
; %bb.81:
	v_mbcnt_lo_u32_b32 v2, exec_lo, 0
	s_mov_b32 s1, exec_lo
	s_delay_alu instid0(VALU_DEP_1)
	v_cmpx_eq_u32_e32 0, v2
	s_xor_b32 s1, exec_lo, s1
	s_cbranch_execz .LBB42_83
; %bb.82:
	v_dual_mov_b32 v2, 0 :: v_dual_mov_b32 v3, s0
	global_atomic_min_i32 v2, v3, s[16:17] scope:SCOPE_DEV
.LBB42_83:
	s_wait_xcnt 0x0
	s_or_b32 exec_lo, exec_lo, s4
	v_cmp_eq_u32_e32 vcc_lo, 0, v22
	global_wb scope:SCOPE_DEV
	s_wait_loadcnt 0x0
	s_wait_storecnt 0x0
	global_inv scope:SCOPE_DEV
	s_and_b32 exec_lo, exec_lo, vcc_lo
	s_cbranch_execz .LBB42_85
; %bb.84:
	v_lshl_add_u64 v[0:1], v[0:1], 2, s[12:13]
	v_mov_b32_e32 v2, 1
	global_wb scope:SCOPE_DEV
	s_wait_loadcnt 0x0
	s_wait_storecnt 0x0
	global_store_b32 v[0:1], v2, off scope:SCOPE_DEV
.LBB42_85:
	s_endpgm
	.section	.rodata,"a",@progbits
	.p2align	6, 0x0
	.amdhsa_kernel _ZN9rocsparseL12csrilu0_hashILj256ELj32ELj4E21rocsparse_complex_numIdEEEviPKiS4_PT2_S4_PiS4_S7_S7_d21rocsparse_index_base_imNS_24const_host_device_scalarIfEENS9_IdEENS9_IS5_EEb
		.amdhsa_group_segment_fixed_size 8192
		.amdhsa_private_segment_fixed_size 16
		.amdhsa_kernarg_size 132
		.amdhsa_user_sgpr_count 2
		.amdhsa_user_sgpr_dispatch_ptr 0
		.amdhsa_user_sgpr_queue_ptr 0
		.amdhsa_user_sgpr_kernarg_segment_ptr 1
		.amdhsa_user_sgpr_dispatch_id 0
		.amdhsa_user_sgpr_kernarg_preload_length 0
		.amdhsa_user_sgpr_kernarg_preload_offset 0
		.amdhsa_user_sgpr_private_segment_size 0
		.amdhsa_wavefront_size32 1
		.amdhsa_uses_dynamic_stack 0
		.amdhsa_enable_private_segment 1
		.amdhsa_system_sgpr_workgroup_id_x 1
		.amdhsa_system_sgpr_workgroup_id_y 0
		.amdhsa_system_sgpr_workgroup_id_z 0
		.amdhsa_system_sgpr_workgroup_info 0
		.amdhsa_system_vgpr_workitem_id 0
		.amdhsa_next_free_vgpr 38
		.amdhsa_next_free_sgpr 40
		.amdhsa_named_barrier_count 0
		.amdhsa_reserve_vcc 1
		.amdhsa_float_round_mode_32 0
		.amdhsa_float_round_mode_16_64 0
		.amdhsa_float_denorm_mode_32 3
		.amdhsa_float_denorm_mode_16_64 3
		.amdhsa_fp16_overflow 0
		.amdhsa_memory_ordered 1
		.amdhsa_forward_progress 1
		.amdhsa_inst_pref_size 29
		.amdhsa_round_robin_scheduling 0
		.amdhsa_exception_fp_ieee_invalid_op 0
		.amdhsa_exception_fp_denorm_src 0
		.amdhsa_exception_fp_ieee_div_zero 0
		.amdhsa_exception_fp_ieee_overflow 0
		.amdhsa_exception_fp_ieee_underflow 0
		.amdhsa_exception_fp_ieee_inexact 0
		.amdhsa_exception_int_div_zero 0
	.end_amdhsa_kernel
	.section	.text._ZN9rocsparseL12csrilu0_hashILj256ELj32ELj4E21rocsparse_complex_numIdEEEviPKiS4_PT2_S4_PiS4_S7_S7_d21rocsparse_index_base_imNS_24const_host_device_scalarIfEENS9_IdEENS9_IS5_EEb,"axG",@progbits,_ZN9rocsparseL12csrilu0_hashILj256ELj32ELj4E21rocsparse_complex_numIdEEEviPKiS4_PT2_S4_PiS4_S7_S7_d21rocsparse_index_base_imNS_24const_host_device_scalarIfEENS9_IdEENS9_IS5_EEb,comdat
.Lfunc_end42:
	.size	_ZN9rocsparseL12csrilu0_hashILj256ELj32ELj4E21rocsparse_complex_numIdEEEviPKiS4_PT2_S4_PiS4_S7_S7_d21rocsparse_index_base_imNS_24const_host_device_scalarIfEENS9_IdEENS9_IS5_EEb, .Lfunc_end42-_ZN9rocsparseL12csrilu0_hashILj256ELj32ELj4E21rocsparse_complex_numIdEEEviPKiS4_PT2_S4_PiS4_S7_S7_d21rocsparse_index_base_imNS_24const_host_device_scalarIfEENS9_IdEENS9_IS5_EEb
                                        ; -- End function
	.set _ZN9rocsparseL12csrilu0_hashILj256ELj32ELj4E21rocsparse_complex_numIdEEEviPKiS4_PT2_S4_PiS4_S7_S7_d21rocsparse_index_base_imNS_24const_host_device_scalarIfEENS9_IdEENS9_IS5_EEb.num_vgpr, 38
	.set _ZN9rocsparseL12csrilu0_hashILj256ELj32ELj4E21rocsparse_complex_numIdEEEviPKiS4_PT2_S4_PiS4_S7_S7_d21rocsparse_index_base_imNS_24const_host_device_scalarIfEENS9_IdEENS9_IS5_EEb.num_agpr, 0
	.set _ZN9rocsparseL12csrilu0_hashILj256ELj32ELj4E21rocsparse_complex_numIdEEEviPKiS4_PT2_S4_PiS4_S7_S7_d21rocsparse_index_base_imNS_24const_host_device_scalarIfEENS9_IdEENS9_IS5_EEb.numbered_sgpr, 40
	.set _ZN9rocsparseL12csrilu0_hashILj256ELj32ELj4E21rocsparse_complex_numIdEEEviPKiS4_PT2_S4_PiS4_S7_S7_d21rocsparse_index_base_imNS_24const_host_device_scalarIfEENS9_IdEENS9_IS5_EEb.num_named_barrier, 0
	.set _ZN9rocsparseL12csrilu0_hashILj256ELj32ELj4E21rocsparse_complex_numIdEEEviPKiS4_PT2_S4_PiS4_S7_S7_d21rocsparse_index_base_imNS_24const_host_device_scalarIfEENS9_IdEENS9_IS5_EEb.private_seg_size, 16
	.set _ZN9rocsparseL12csrilu0_hashILj256ELj32ELj4E21rocsparse_complex_numIdEEEviPKiS4_PT2_S4_PiS4_S7_S7_d21rocsparse_index_base_imNS_24const_host_device_scalarIfEENS9_IdEENS9_IS5_EEb.uses_vcc, 1
	.set _ZN9rocsparseL12csrilu0_hashILj256ELj32ELj4E21rocsparse_complex_numIdEEEviPKiS4_PT2_S4_PiS4_S7_S7_d21rocsparse_index_base_imNS_24const_host_device_scalarIfEENS9_IdEENS9_IS5_EEb.uses_flat_scratch, 0
	.set _ZN9rocsparseL12csrilu0_hashILj256ELj32ELj4E21rocsparse_complex_numIdEEEviPKiS4_PT2_S4_PiS4_S7_S7_d21rocsparse_index_base_imNS_24const_host_device_scalarIfEENS9_IdEENS9_IS5_EEb.has_dyn_sized_stack, 0
	.set _ZN9rocsparseL12csrilu0_hashILj256ELj32ELj4E21rocsparse_complex_numIdEEEviPKiS4_PT2_S4_PiS4_S7_S7_d21rocsparse_index_base_imNS_24const_host_device_scalarIfEENS9_IdEENS9_IS5_EEb.has_recursion, 0
	.set _ZN9rocsparseL12csrilu0_hashILj256ELj32ELj4E21rocsparse_complex_numIdEEEviPKiS4_PT2_S4_PiS4_S7_S7_d21rocsparse_index_base_imNS_24const_host_device_scalarIfEENS9_IdEENS9_IS5_EEb.has_indirect_call, 0
	.section	.AMDGPU.csdata,"",@progbits
; Kernel info:
; codeLenInByte = 3608
; TotalNumSgprs: 42
; NumVgprs: 38
; ScratchSize: 16
; MemoryBound: 0
; FloatMode: 240
; IeeeMode: 1
; LDSByteSize: 8192 bytes/workgroup (compile time only)
; SGPRBlocks: 0
; VGPRBlocks: 2
; NumSGPRsForWavesPerEU: 42
; NumVGPRsForWavesPerEU: 38
; NamedBarCnt: 0
; Occupancy: 16
; WaveLimiterHint : 1
; COMPUTE_PGM_RSRC2:SCRATCH_EN: 1
; COMPUTE_PGM_RSRC2:USER_SGPR: 2
; COMPUTE_PGM_RSRC2:TRAP_HANDLER: 0
; COMPUTE_PGM_RSRC2:TGID_X_EN: 1
; COMPUTE_PGM_RSRC2:TGID_Y_EN: 0
; COMPUTE_PGM_RSRC2:TGID_Z_EN: 0
; COMPUTE_PGM_RSRC2:TIDIG_COMP_CNT: 0
	.section	.text._ZN9rocsparseL12csrilu0_hashILj256ELj32ELj8E21rocsparse_complex_numIdEEEviPKiS4_PT2_S4_PiS4_S7_S7_d21rocsparse_index_base_imNS_24const_host_device_scalarIfEENS9_IdEENS9_IS5_EEb,"axG",@progbits,_ZN9rocsparseL12csrilu0_hashILj256ELj32ELj8E21rocsparse_complex_numIdEEEviPKiS4_PT2_S4_PiS4_S7_S7_d21rocsparse_index_base_imNS_24const_host_device_scalarIfEENS9_IdEENS9_IS5_EEb,comdat
	.globl	_ZN9rocsparseL12csrilu0_hashILj256ELj32ELj8E21rocsparse_complex_numIdEEEviPKiS4_PT2_S4_PiS4_S7_S7_d21rocsparse_index_base_imNS_24const_host_device_scalarIfEENS9_IdEENS9_IS5_EEb ; -- Begin function _ZN9rocsparseL12csrilu0_hashILj256ELj32ELj8E21rocsparse_complex_numIdEEEviPKiS4_PT2_S4_PiS4_S7_S7_d21rocsparse_index_base_imNS_24const_host_device_scalarIfEENS9_IdEENS9_IS5_EEb
	.p2align	8
	.type	_ZN9rocsparseL12csrilu0_hashILj256ELj32ELj8E21rocsparse_complex_numIdEEEviPKiS4_PT2_S4_PiS4_S7_S7_d21rocsparse_index_base_imNS_24const_host_device_scalarIfEENS9_IdEENS9_IS5_EEb,@function
_ZN9rocsparseL12csrilu0_hashILj256ELj32ELj8E21rocsparse_complex_numIdEEEviPKiS4_PT2_S4_PiS4_S7_S7_d21rocsparse_index_base_imNS_24const_host_device_scalarIfEENS9_IdEENS9_IS5_EEb: ; @_ZN9rocsparseL12csrilu0_hashILj256ELj32ELj8E21rocsparse_complex_numIdEEEviPKiS4_PT2_S4_PiS4_S7_S7_d21rocsparse_index_base_imNS_24const_host_device_scalarIfEENS9_IdEENS9_IS5_EEb
; %bb.0:
	s_clause 0x2
	s_load_b96 s[4:6], s[0:1], 0x78
	s_load_b64 s[28:29], s[0:1], 0x50
	s_load_b256 s[20:27], s[0:1], 0x58
	s_wait_kmcnt 0x0
	s_bitcmp1_b32 s6, 0
	s_cselect_b32 s2, -1, 0
	s_cmp_eq_u32 s29, 0
	v_mov_b64_e32 v[2:3], s[26:27]
	s_cselect_b32 s3, -1, 0
	s_cmp_lg_u32 s29, 0
	s_cselect_b32 s8, -1, 0
	s_or_b32 s10, s3, s2
	s_delay_alu instid0(SALU_CYCLE_1)
	s_xor_b32 s9, s10, -1
	s_and_b32 s3, s3, exec_lo
	s_cselect_b32 s7, 0, s25
	s_cselect_b32 s6, 0, s24
	;; [unrolled: 1-line block ×3, first 2 shown]
	s_and_b32 vcc_lo, exec_lo, s10
	scratch_store_b64 off, v[2:3], off
	s_cbranch_vccnz .LBB43_2
; %bb.1:
	s_load_b32 s3, s[22:23], 0x0
	s_mov_b64 s[6:7], s[24:25]
.LBB43_2:
	s_delay_alu instid0(SALU_CYCLE_1)
	v_mov_b64_e32 v[14:15], s[6:7]
	s_and_not1_b32 vcc_lo, exec_lo, s9
	s_cbranch_vccnz .LBB43_4
; %bb.3:
	v_mov_b32_e32 v1, 0
	flat_load_b64 v[14:15], v1, s[24:25]
.LBB43_4:
	v_mov_b64_e32 v[4:5], 0
	s_wait_xcnt 0x0
	v_mov_b64_e32 v[2:3], 0
	v_cndmask_b32_e64 v17, 0, 1, s8
	s_and_not1_b32 vcc_lo, exec_lo, s8
	s_cbranch_vccnz .LBB43_7
; %bb.5:
	v_mbcnt_lo_u32_b32 v1, -1, 0
	v_mov_b32_e32 v2, 0
	v_mov_b64_e32 v[4:5], s[4:5]
	s_delay_alu instid0(VALU_DEP_3) | instskip(NEXT) | instid1(VALU_DEP_1)
	v_lshlrev_b32_e32 v3, 20, v1
	v_add_nc_u64_e32 v[2:3], src_flat_scratch_base_lo, v[2:3]
	s_delay_alu instid0(VALU_DEP_1) | instskip(NEXT) | instid1(VALU_DEP_2)
	v_cndmask_b32_e64 v3, s27, v3, s2
	v_cndmask_b32_e64 v2, s26, v2, s2
	s_xor_b32 s2, s2, -1
	s_delay_alu instid0(SALU_CYCLE_1)
	s_and_not1_b32 vcc_lo, exec_lo, s2
	flat_load_b64 v[2:3], v[2:3]
	s_cbranch_vccnz .LBB43_7
; %bb.6:
	v_mov_b32_e32 v1, 0
	flat_load_b64 v[4:5], v1, s[26:27] offset:8
.LBB43_7:
	s_load_b32 s2, s[0:1], 0x0
	s_bfe_u32 s4, ttmp6, 0x4000c
	v_dual_lshlrev_b32 v1, 3, v0 :: v_dual_bitop2_b32 v22, 31, v0 bitop3:0x40
	s_add_co_i32 s4, s4, 1
	s_and_b32 s5, ttmp6, 15
	s_mul_i32 s4, ttmp9, s4
	s_getreg_b32 s6, hwreg(HW_REG_IB_STS2, 6, 4)
	s_add_co_i32 s5, s5, s4
	s_cmp_eq_u32 s6, 0
	v_and_b32_e32 v8, 0x700, v1
	v_dual_lshrrev_b32 v0, 5, v0 :: v_dual_mov_b32 v6, -1
	s_cselect_b32 s4, ttmp9, s5
	s_delay_alu instid0(SALU_CYCLE_1) | instskip(NEXT) | instid1(VALU_DEP_2)
	s_lshl_b32 s4, s4, 3
	v_lshl_or_b32 v23, v8, 2, 0x2000
	s_delay_alu instid0(VALU_DEP_2) | instskip(NEXT) | instid1(VALU_DEP_2)
	v_and_or_b32 v0, 0x7fffff8, s4, v0
	v_lshl_or_b32 v1, v22, 2, v23
	s_wait_kmcnt 0x0
	s_delay_alu instid0(VALU_DEP_2)
	v_cmp_gt_i32_e32 vcc_lo, s2, v0
	ds_store_2addr_b32 v1, v6, v6 offset1:32
	ds_store_2addr_b32 v1, v6, v6 offset0:64 offset1:96
	ds_store_2addr_b32 v1, v6, v6 offset0:128 offset1:160
	;; [unrolled: 1-line block ×3, first 2 shown]
	s_wait_storecnt 0x0
	s_wait_loadcnt_dscnt 0x0
	s_and_saveexec_b32 s2, vcc_lo
	s_cbranch_execz .LBB43_85
; %bb.8:
	s_load_b512 s[4:19], s[0:1], 0x8
	v_lshlrev_b32_e32 v24, 2, v8
	s_mov_b32 s2, exec_lo
	s_wait_kmcnt 0x0
	global_load_b32 v0, v0, s[14:15] scale_offset
	s_wait_loadcnt 0x0
	v_ashrrev_i32_e32 v1, 31, v0
	s_delay_alu instid0(VALU_DEP_1)
	v_lshl_add_u64 v[6:7], v[0:1], 2, s[4:5]
	global_load_b64 v[10:11], v[6:7], off
	global_load_b32 v16, v0, s[10:11] scale_offset
	s_wait_loadcnt 0x1
	v_subrev_nc_u32_e32 v18, s28, v10
	v_subrev_nc_u32_e32 v6, s28, v11
	s_delay_alu instid0(VALU_DEP_2) | instskip(SKIP_1) | instid1(VALU_DEP_1)
	v_add_nc_u32_e32 v7, v18, v22
	s_wait_xcnt 0x0
	v_cmpx_lt_i32_e64 v7, v6
	s_cbranch_execz .LBB43_31
; %bb.9:
	v_mov_b32_e32 v8, -1
	s_mov_b32 s14, 0
	s_branch .LBB43_11
.LBB43_10:                              ;   in Loop: Header=BB43_11 Depth=1
	s_or_b32 exec_lo, exec_lo, s15
	v_add_nc_u32_e32 v7, 32, v7
	s_delay_alu instid0(VALU_DEP_1) | instskip(SKIP_1) | instid1(SALU_CYCLE_1)
	v_cmp_ge_i32_e32 vcc_lo, v7, v6
	s_or_b32 s14, vcc_lo, s14
	s_and_not1_b32 exec_lo, exec_lo, s14
	s_cbranch_execz .LBB43_31
.LBB43_11:                              ; =>This Loop Header: Depth=1
                                        ;     Child Loop BB43_20 Depth 2
	global_load_b32 v9, v7, s[6:7] scale_offset
	v_mov_b32_e32 v10, 0x100
	s_mov_b32 s15, 0
                                        ; implicit-def: $sgpr22
                                        ; implicit-def: $sgpr23
                                        ; implicit-def: $sgpr24
	s_wait_loadcnt 0x0
	v_mul_lo_u32 v12, 0x67, v9
	s_branch .LBB43_20
.LBB43_12:                              ;   in Loop: Header=BB43_20 Depth=2
	s_or_b32 exec_lo, exec_lo, s36
	s_delay_alu instid0(SALU_CYCLE_1)
	s_or_not1_b32 s34, s34, exec_lo
	s_or_not1_b32 s35, s35, exec_lo
.LBB43_13:                              ;   in Loop: Header=BB43_20 Depth=2
	s_or_b32 exec_lo, exec_lo, s33
	s_delay_alu instid0(SALU_CYCLE_1)
	s_and_b32 s34, s34, exec_lo
	s_or_not1_b32 s33, s35, exec_lo
.LBB43_14:                              ;   in Loop: Header=BB43_20 Depth=2
	s_or_b32 exec_lo, exec_lo, s31
	s_delay_alu instid0(SALU_CYCLE_1)
	s_or_not1_b32 s31, s34, exec_lo
	s_or_not1_b32 s33, s33, exec_lo
.LBB43_15:                              ;   in Loop: Header=BB43_20 Depth=2
	s_or_b32 exec_lo, exec_lo, s30
	s_delay_alu instid0(SALU_CYCLE_1)
	s_and_b32 s31, s31, exec_lo
	s_or_not1_b32 s30, s33, exec_lo
.LBB43_16:                              ;   in Loop: Header=BB43_20 Depth=2
	s_or_b32 exec_lo, exec_lo, s29
	s_delay_alu instid0(SALU_CYCLE_1)
	s_or_not1_b32 s29, s31, exec_lo
	s_or_not1_b32 s30, s30, exec_lo
.LBB43_17:                              ;   in Loop: Header=BB43_20 Depth=2
	s_or_b32 exec_lo, exec_lo, s27
	s_delay_alu instid0(SALU_CYCLE_1)
	s_and_b32 s29, s29, exec_lo
	s_or_not1_b32 s27, s30, exec_lo
.LBB43_18:                              ;   in Loop: Header=BB43_20 Depth=2
	s_or_b32 exec_lo, exec_lo, s26
	s_delay_alu instid0(SALU_CYCLE_1)
	s_and_not1_b32 s24, s24, exec_lo
	s_and_b32 s26, s29, exec_lo
	s_and_not1_b32 s23, s23, exec_lo
	s_and_b32 s27, s27, exec_lo
	s_or_b32 s24, s24, s26
	s_or_b32 s23, s23, s27
.LBB43_19:                              ;   in Loop: Header=BB43_20 Depth=2
	s_or_b32 exec_lo, exec_lo, s25
	s_delay_alu instid0(SALU_CYCLE_1) | instskip(NEXT) | instid1(SALU_CYCLE_1)
	s_and_b32 s25, exec_lo, s23
	s_or_b32 s15, s25, s15
	s_and_not1_b32 s22, s22, exec_lo
	s_and_b32 s25, s24, exec_lo
	s_delay_alu instid0(SALU_CYCLE_1)
	s_or_b32 s22, s22, s25
	s_and_not1_b32 exec_lo, exec_lo, s15
	s_cbranch_execz .LBB43_29
.LBB43_20:                              ;   Parent Loop BB43_11 Depth=1
                                        ; =>  This Inner Loop Header: Depth=2
	s_delay_alu instid0(VALU_DEP_1) | instskip(SKIP_3) | instid1(VALU_DEP_1)
	v_and_b32_e32 v11, 0xff, v12
	s_or_b32 s24, s24, exec_lo
	s_or_b32 s23, s23, exec_lo
	s_mov_b32 s25, exec_lo
	v_lshl_add_u32 v13, v11, 2, v23
	ds_load_b32 v19, v13
	s_wait_dscnt 0x0
	s_wait_xcnt 0x0
	v_cmpx_ne_u32_e64 v19, v9
	s_cbranch_execz .LBB43_19
; %bb.21:                               ;   in Loop: Header=BB43_20 Depth=2
	ds_cmpstore_rtn_b32 v13, v13, v9, v8
	s_mov_b32 s27, -1
	s_mov_b32 s29, 0
	s_mov_b32 s26, exec_lo
	s_wait_dscnt 0x0
	v_cmpx_ne_u32_e32 -1, v13
	s_cbranch_execz .LBB43_18
; %bb.22:                               ;   in Loop: Header=BB43_20 Depth=2
	v_add_nc_u32_e32 v11, 1, v12
	s_mov_b32 s30, -1
	s_mov_b32 s29, -1
	s_mov_b32 s27, exec_lo
	s_delay_alu instid0(VALU_DEP_1) | instskip(NEXT) | instid1(VALU_DEP_1)
	v_and_b32_e32 v11, 0xff, v11
	v_lshl_add_u32 v13, v11, 2, v23
	ds_load_b32 v19, v13
	s_wait_dscnt 0x0
	v_cmpx_ne_u32_e64 v19, v9
	s_cbranch_execz .LBB43_17
; %bb.23:                               ;   in Loop: Header=BB43_20 Depth=2
	ds_cmpstore_rtn_b32 v13, v13, v9, v8
	s_mov_b32 s31, 0
	s_mov_b32 s29, exec_lo
	s_wait_dscnt 0x0
	v_cmpx_ne_u32_e32 -1, v13
	s_cbranch_execz .LBB43_16
; %bb.24:                               ;   in Loop: Header=BB43_20 Depth=2
	v_add_nc_u32_e32 v11, 2, v12
	s_mov_b32 s33, -1
	s_mov_b32 s31, -1
	s_mov_b32 s30, exec_lo
	s_delay_alu instid0(VALU_DEP_1) | instskip(NEXT) | instid1(VALU_DEP_1)
	v_and_b32_e32 v11, 0xff, v11
	v_lshl_add_u32 v13, v11, 2, v23
	ds_load_b32 v19, v13
	s_wait_dscnt 0x0
	v_cmpx_ne_u32_e64 v19, v9
	s_cbranch_execz .LBB43_15
; %bb.25:                               ;   in Loop: Header=BB43_20 Depth=2
	ds_cmpstore_rtn_b32 v13, v13, v9, v8
	s_mov_b32 s34, 0
	s_mov_b32 s31, exec_lo
	s_wait_dscnt 0x0
	v_cmpx_ne_u32_e32 -1, v13
	s_cbranch_execz .LBB43_14
; %bb.26:                               ;   in Loop: Header=BB43_20 Depth=2
	v_add_nc_u32_e32 v11, 3, v12
	s_mov_b32 s35, -1
	s_mov_b32 s34, -1
	s_delay_alu instid0(VALU_DEP_1) | instskip(NEXT) | instid1(VALU_DEP_1)
	v_and_b32_e32 v11, 0xff, v11
	v_lshl_add_u32 v13, v11, 2, v23
	ds_load_b32 v12, v13
	s_wait_dscnt 0x0
	v_cmp_ne_u32_e32 vcc_lo, v12, v9
                                        ; implicit-def: $vgpr12
	s_and_saveexec_b32 s33, vcc_lo
	s_cbranch_execz .LBB43_13
; %bb.27:                               ;   in Loop: Header=BB43_20 Depth=2
	ds_cmpstore_rtn_b32 v12, v13, v9, v8
	s_mov_b32 s34, 0
	s_wait_dscnt 0x0
	v_cmp_ne_u32_e32 vcc_lo, -1, v12
                                        ; implicit-def: $vgpr12
	s_and_saveexec_b32 s36, vcc_lo
	s_cbranch_execz .LBB43_12
; %bb.28:                               ;   in Loop: Header=BB43_20 Depth=2
	v_dual_add_nc_u32 v10, -4, v10 :: v_dual_add_nc_u32 v12, 1, v11
	s_mov_b32 s34, exec_lo
	s_delay_alu instid0(VALU_DEP_1)
	v_cmp_eq_u32_e32 vcc_lo, 0, v10
	s_or_not1_b32 s35, vcc_lo, exec_lo
	s_branch .LBB43_12
.LBB43_29:                              ;   in Loop: Header=BB43_11 Depth=1
	s_or_b32 exec_lo, exec_lo, s15
	s_xor_b32 s15, s22, -1
	s_delay_alu instid0(SALU_CYCLE_1) | instskip(NEXT) | instid1(SALU_CYCLE_1)
	s_and_saveexec_b32 s22, s15
	s_xor_b32 s15, exec_lo, s22
	s_cbranch_execz .LBB43_10
; %bb.30:                               ;   in Loop: Header=BB43_11 Depth=1
	v_lshl_add_u32 v9, v11, 2, v24
	ds_store_b32 v9, v7
	s_branch .LBB43_10
.LBB43_31:
	s_or_b32 exec_lo, exec_lo, s2
	s_delay_alu instid0(SALU_CYCLE_1)
	s_mov_b32 s14, exec_lo
	s_wait_loadcnt_dscnt 0x0
	v_cmpx_lt_i32_e64 v18, v16
	s_cbranch_execz .LBB43_61
; %bb.32:
	v_add_nc_u32_e32 v25, 1, v22
	s_mov_b32 s15, 0
	s_branch .LBB43_35
.LBB43_33:                              ;   in Loop: Header=BB43_35 Depth=1
	s_or_b32 exec_lo, exec_lo, s22
	v_add_nc_u32_e32 v18, 1, v18
	s_delay_alu instid0(VALU_DEP_1)
	v_cmp_ge_i32_e32 vcc_lo, v18, v16
	s_or_not1_b32 s22, vcc_lo, exec_lo
.LBB43_34:                              ;   in Loop: Header=BB43_35 Depth=1
	s_or_b32 exec_lo, exec_lo, s2
	s_delay_alu instid0(SALU_CYCLE_1) | instskip(NEXT) | instid1(SALU_CYCLE_1)
	s_and_b32 s2, exec_lo, s22
	s_or_b32 s15, s2, s15
	s_delay_alu instid0(SALU_CYCLE_1)
	s_and_not1_b32 exec_lo, exec_lo, s15
	s_cbranch_execz .LBB43_61
.LBB43_35:                              ; =>This Loop Header: Depth=1
                                        ;     Child Loop BB43_36 Depth 2
                                        ;     Child Loop BB43_41 Depth 2
                                        ;       Child Loop BB43_50 Depth 3
	s_clause 0x1
	global_load_b32 v10, v18, s[6:7] scale_offset
	global_load_b128 v[6:9], v18, s[8:9] scale_offset
	v_ashrrev_i32_e32 v19, 31, v18
	s_mov_b32 s2, 0
	s_delay_alu instid0(VALU_DEP_1)
	v_lshl_add_u64 v[20:21], v[18:19], 4, s[8:9]
	s_wait_loadcnt 0x1
	v_subrev_nc_u32_e32 v10, s28, v10
	s_clause 0x1
	global_load_b32 v13, v10, s[4:5] offset:4 scale_offset
	global_load_b32 v12, v10, s[10:11] scale_offset
	v_ashrrev_i32_e32 v11, 31, v10
	s_wait_xcnt 0x0
	s_delay_alu instid0(VALU_DEP_1)
	v_lshl_add_u64 v[10:11], v[10:11], 2, s[12:13]
.LBB43_36:                              ;   Parent Loop BB43_35 Depth=1
                                        ; =>  This Inner Loop Header: Depth=2
	global_load_b32 v19, v[10:11], off scope:SCOPE_DEV
	s_wait_loadcnt 0x0
	v_cmp_ne_u32_e32 vcc_lo, 0, v19
	s_or_b32 s2, vcc_lo, s2
	s_wait_xcnt 0x0
	s_and_not1_b32 exec_lo, exec_lo, s2
	s_cbranch_execnz .LBB43_36
; %bb.37:                               ;   in Loop: Header=BB43_35 Depth=1
	s_or_b32 exec_lo, exec_lo, s2
	v_subrev_nc_u32_e32 v19, s28, v13
	v_cmp_eq_u32_e32 vcc_lo, -1, v12
	global_inv scope:SCOPE_DEV
	s_mov_b32 s22, -1
	v_add_nc_u32_e32 v10, -1, v19
	s_delay_alu instid0(VALU_DEP_1)
	v_cndmask_b32_e32 v26, v12, v10, vcc_lo
	global_load_b128 v[10:13], v26, s[8:9] scale_offset
	s_wait_loadcnt 0x0
	v_cmp_neq_f64_e32 vcc_lo, 0, v[10:11]
	v_cmp_neq_f64_e64 s2, 0, v[12:13]
	s_or_b32 s23, vcc_lo, s2
	s_wait_xcnt 0x0
	s_and_saveexec_b32 s2, s23
	s_cbranch_execz .LBB43_34
; %bb.38:                               ;   in Loop: Header=BB43_35 Depth=1
	v_mul_f64_e32 v[28:29], v[12:13], v[12:13]
	s_mov_b32 s22, exec_lo
	s_delay_alu instid0(VALU_DEP_1) | instskip(NEXT) | instid1(VALU_DEP_1)
	v_fmac_f64_e32 v[28:29], v[10:11], v[10:11]
	v_div_scale_f64 v[30:31], null, v[28:29], v[28:29], 1.0
	v_div_scale_f64 v[36:37], vcc_lo, 1.0, v[28:29], 1.0
	s_delay_alu instid0(VALU_DEP_2) | instskip(SKIP_1) | instid1(TRANS32_DEP_1)
	v_rcp_f64_e32 v[32:33], v[30:31]
	v_nop
	v_fma_f64 v[34:35], -v[30:31], v[32:33], 1.0
	s_delay_alu instid0(VALU_DEP_1) | instskip(NEXT) | instid1(VALU_DEP_1)
	v_fmac_f64_e32 v[32:33], v[32:33], v[34:35]
	v_fma_f64 v[34:35], -v[30:31], v[32:33], 1.0
	s_delay_alu instid0(VALU_DEP_1) | instskip(NEXT) | instid1(VALU_DEP_1)
	v_fmac_f64_e32 v[32:33], v[32:33], v[34:35]
	v_mul_f64_e32 v[34:35], v[36:37], v[32:33]
	s_delay_alu instid0(VALU_DEP_1) | instskip(SKIP_2) | instid1(VALU_DEP_3)
	v_fma_f64 v[30:31], -v[30:31], v[34:35], v[36:37]
	v_mul_f64_e32 v[36:37], v[8:9], v[12:13]
	v_mul_f64_e64 v[12:13], v[12:13], -v[6:7]
	v_div_fmas_f64 v[30:31], v[30:31], v[32:33], v[34:35]
	s_delay_alu instid0(VALU_DEP_3) | instskip(NEXT) | instid1(VALU_DEP_3)
	v_fmac_f64_e32 v[36:37], v[6:7], v[10:11]
	v_fmac_f64_e32 v[12:13], v[8:9], v[10:11]
	v_add_nc_u32_e32 v10, v25, v26
	s_delay_alu instid0(VALU_DEP_4) | instskip(NEXT) | instid1(VALU_DEP_1)
	v_div_fixup_f64 v[28:29], v[30:31], v[28:29], 1.0
	v_mul_f64_e32 v[6:7], v[36:37], v[28:29]
	s_delay_alu instid0(VALU_DEP_4)
	v_mul_f64_e32 v[8:9], v[12:13], v[28:29]
	global_store_b128 v[20:21], v[6:9], off
	s_wait_xcnt 0x0
	v_cmpx_lt_i32_e64 v10, v19
	s_cbranch_execz .LBB43_33
; %bb.39:                               ;   in Loop: Header=BB43_35 Depth=1
	s_mov_b32 s23, 0
	s_branch .LBB43_41
.LBB43_40:                              ;   in Loop: Header=BB43_41 Depth=2
	s_wait_xcnt 0x0
	s_or_b32 exec_lo, exec_lo, s24
	v_add_nc_u32_e32 v10, 32, v10
	s_delay_alu instid0(VALU_DEP_1) | instskip(SKIP_1) | instid1(SALU_CYCLE_1)
	v_cmp_ge_i32_e32 vcc_lo, v10, v19
	s_or_b32 s23, vcc_lo, s23
	s_and_not1_b32 exec_lo, exec_lo, s23
	s_cbranch_execz .LBB43_33
.LBB43_41:                              ;   Parent Loop BB43_35 Depth=1
                                        ; =>  This Loop Header: Depth=2
                                        ;       Child Loop BB43_50 Depth 3
	global_load_b32 v12, v10, s[6:7] scale_offset
	v_ashrrev_i32_e32 v11, 31, v10
	v_mov_b32_e32 v13, 0x100
	s_mov_b32 s24, 0
                                        ; implicit-def: $sgpr25
                                        ; implicit-def: $sgpr26
                                        ; implicit-def: $sgpr27
	s_wait_loadcnt 0x0
	v_mul_lo_u32 v21, 0x67, v12
	s_branch .LBB43_50
.LBB43_42:                              ;   in Loop: Header=BB43_50 Depth=3
	s_or_b32 exec_lo, exec_lo, s39
	s_delay_alu instid0(SALU_CYCLE_1)
	s_or_not1_b32 s37, s37, exec_lo
	s_or_not1_b32 s38, s38, exec_lo
.LBB43_43:                              ;   in Loop: Header=BB43_50 Depth=3
	s_or_b32 exec_lo, exec_lo, s36
	s_delay_alu instid0(SALU_CYCLE_1)
	s_and_b32 s37, s37, exec_lo
	s_or_not1_b32 s36, s38, exec_lo
.LBB43_44:                              ;   in Loop: Header=BB43_50 Depth=3
	s_or_b32 exec_lo, exec_lo, s35
	s_delay_alu instid0(SALU_CYCLE_1)
	s_or_not1_b32 s35, s37, exec_lo
	s_or_not1_b32 s36, s36, exec_lo
.LBB43_45:                              ;   in Loop: Header=BB43_50 Depth=3
	s_or_b32 exec_lo, exec_lo, s34
	s_delay_alu instid0(SALU_CYCLE_1)
	s_and_b32 s35, s35, exec_lo
	s_or_not1_b32 s34, s36, exec_lo
.LBB43_46:                              ;   in Loop: Header=BB43_50 Depth=3
	s_or_b32 exec_lo, exec_lo, s33
	s_delay_alu instid0(SALU_CYCLE_1)
	s_or_not1_b32 s33, s35, exec_lo
	s_or_not1_b32 s34, s34, exec_lo
.LBB43_47:                              ;   in Loop: Header=BB43_50 Depth=3
	s_or_b32 exec_lo, exec_lo, s31
	s_delay_alu instid0(SALU_CYCLE_1)
	s_and_b32 s33, s33, exec_lo
	s_or_not1_b32 s31, s34, exec_lo
.LBB43_48:                              ;   in Loop: Header=BB43_50 Depth=3
	s_or_b32 exec_lo, exec_lo, s30
	s_delay_alu instid0(SALU_CYCLE_1)
	s_and_not1_b32 s27, s27, exec_lo
	s_and_b32 s30, s33, exec_lo
	s_and_not1_b32 s26, s26, exec_lo
	s_and_b32 s31, s31, exec_lo
	s_or_b32 s27, s27, s30
	s_or_b32 s26, s26, s31
.LBB43_49:                              ;   in Loop: Header=BB43_50 Depth=3
	s_or_b32 exec_lo, exec_lo, s29
	s_delay_alu instid0(SALU_CYCLE_1) | instskip(NEXT) | instid1(SALU_CYCLE_1)
	s_and_b32 s29, exec_lo, s26
	s_or_b32 s24, s29, s24
	s_and_not1_b32 s25, s25, exec_lo
	s_and_b32 s29, s27, exec_lo
	s_delay_alu instid0(SALU_CYCLE_1)
	s_or_b32 s25, s25, s29
	s_and_not1_b32 exec_lo, exec_lo, s24
	s_cbranch_execz .LBB43_59
.LBB43_50:                              ;   Parent Loop BB43_35 Depth=1
                                        ;     Parent Loop BB43_41 Depth=2
                                        ; =>    This Inner Loop Header: Depth=3
	s_delay_alu instid0(VALU_DEP_1) | instskip(SKIP_3) | instid1(VALU_DEP_1)
	v_and_b32_e32 v20, 0xff, v21
	s_or_b32 s27, s27, exec_lo
	s_or_b32 s26, s26, exec_lo
	s_mov_b32 s29, exec_lo
	v_lshl_add_u32 v26, v20, 2, v23
	ds_load_b32 v26, v26
	s_wait_dscnt 0x0
	s_wait_xcnt 0x0
	v_cmpx_ne_u32_e32 -1, v26
	s_cbranch_execz .LBB43_49
; %bb.51:                               ;   in Loop: Header=BB43_50 Depth=3
	s_mov_b32 s31, -1
	s_mov_b32 s33, 0
	s_mov_b32 s30, exec_lo
	v_cmpx_ne_u32_e64 v26, v12
	s_cbranch_execz .LBB43_48
; %bb.52:                               ;   in Loop: Header=BB43_50 Depth=3
	v_add_nc_u32_e32 v20, 1, v21
	s_mov_b32 s34, -1
	s_mov_b32 s33, -1
	s_mov_b32 s31, exec_lo
	s_delay_alu instid0(VALU_DEP_1) | instskip(NEXT) | instid1(VALU_DEP_1)
	v_and_b32_e32 v20, 0xff, v20
	v_lshl_add_u32 v26, v20, 2, v23
	ds_load_b32 v26, v26
	s_wait_dscnt 0x0
	v_cmpx_ne_u32_e32 -1, v26
	s_cbranch_execz .LBB43_47
; %bb.53:                               ;   in Loop: Header=BB43_50 Depth=3
	s_mov_b32 s35, 0
	s_mov_b32 s33, exec_lo
	v_cmpx_ne_u32_e64 v26, v12
	s_cbranch_execz .LBB43_46
; %bb.54:                               ;   in Loop: Header=BB43_50 Depth=3
	v_add_nc_u32_e32 v20, 2, v21
	s_mov_b32 s36, -1
	s_mov_b32 s35, -1
	s_mov_b32 s34, exec_lo
	s_delay_alu instid0(VALU_DEP_1) | instskip(NEXT) | instid1(VALU_DEP_1)
	v_and_b32_e32 v20, 0xff, v20
	v_lshl_add_u32 v26, v20, 2, v23
	ds_load_b32 v26, v26
	s_wait_dscnt 0x0
	v_cmpx_ne_u32_e32 -1, v26
	s_cbranch_execz .LBB43_45
; %bb.55:                               ;   in Loop: Header=BB43_50 Depth=3
	s_mov_b32 s37, 0
	s_mov_b32 s35, exec_lo
	v_cmpx_ne_u32_e64 v26, v12
	s_cbranch_execz .LBB43_44
; %bb.56:                               ;   in Loop: Header=BB43_50 Depth=3
	v_add_nc_u32_e32 v20, 3, v21
	s_mov_b32 s38, -1
	s_mov_b32 s37, -1
	s_mov_b32 s36, exec_lo
	s_delay_alu instid0(VALU_DEP_1) | instskip(NEXT) | instid1(VALU_DEP_1)
	v_and_b32_e32 v20, 0xff, v20
	v_lshl_add_u32 v21, v20, 2, v23
	ds_load_b32 v26, v21
                                        ; implicit-def: $vgpr21
	s_wait_dscnt 0x0
	v_cmpx_ne_u32_e32 -1, v26
	s_cbranch_execz .LBB43_43
; %bb.57:                               ;   in Loop: Header=BB43_50 Depth=3
	s_mov_b32 s37, 0
	s_mov_b32 s39, exec_lo
                                        ; implicit-def: $vgpr21
	v_cmpx_ne_u32_e64 v26, v12
	s_cbranch_execz .LBB43_42
; %bb.58:                               ;   in Loop: Header=BB43_50 Depth=3
	v_dual_add_nc_u32 v13, -4, v13 :: v_dual_add_nc_u32 v21, 1, v20
	s_mov_b32 s37, exec_lo
	s_delay_alu instid0(VALU_DEP_1)
	v_cmp_eq_u32_e32 vcc_lo, 0, v13
	s_or_not1_b32 s38, vcc_lo, exec_lo
	s_branch .LBB43_42
.LBB43_59:                              ;   in Loop: Header=BB43_41 Depth=2
	s_or_b32 exec_lo, exec_lo, s24
	s_xor_b32 s24, s25, -1
	s_delay_alu instid0(SALU_CYCLE_1) | instskip(NEXT) | instid1(SALU_CYCLE_1)
	s_and_saveexec_b32 s25, s24
	s_xor_b32 s24, exec_lo, s25
	s_cbranch_execz .LBB43_40
; %bb.60:                               ;   in Loop: Header=BB43_41 Depth=2
	v_lshl_add_u32 v12, v20, 2, v24
	ds_load_b32 v20, v12
	v_lshl_add_u64 v[12:13], v[10:11], 4, s[8:9]
	global_load_b128 v[26:29], v[12:13], off
	s_wait_dscnt 0x0
	global_load_b128 v[30:33], v20, s[8:9] scale_offset
	s_wait_loadcnt 0x0
	v_fma_f64 v[30:31], -v[6:7], v[26:27], v[30:31]
	s_wait_xcnt 0x1
	v_fma_f64 v[12:13], -v[8:9], v[26:27], v[32:33]
	s_delay_alu instid0(VALU_DEP_2) | instskip(NEXT) | instid1(VALU_DEP_2)
	v_fmac_f64_e32 v[30:31], v[8:9], v[28:29]
	v_fma_f64 v[32:33], -v[6:7], v[28:29], v[12:13]
	global_store_b128 v20, v[30:33], s[8:9] scale_offset
	s_branch .LBB43_40
.LBB43_61:
	s_or_b32 exec_lo, exec_lo, s14
	s_delay_alu instid0(SALU_CYCLE_1)
	s_mov_b32 s4, exec_lo
	s_wait_storecnt 0x0
	v_cmpx_lt_i32_e32 -1, v16
	s_cbranch_execz .LBB43_83
; %bb.62:
	global_load_b128 v[6:9], v16, s[8:9] scale_offset
	s_mov_b32 s2, exec_lo
                                        ; implicit-def: $vgpr18_vgpr19
	s_wait_loadcnt 0x0
	v_cmp_gt_f64_e32 vcc_lo, 0, v[6:7]
	v_xor_b32_e32 v11, 0x80000000, v7
	v_mov_b32_e32 v10, v6
	v_xor_b32_e32 v12, 0x80000000, v9
	s_delay_alu instid0(VALU_DEP_3) | instskip(SKIP_1) | instid1(VALU_DEP_3)
	v_cndmask_b32_e32 v11, v7, v11, vcc_lo
	v_cmp_gt_f64_e32 vcc_lo, 0, v[8:9]
	v_dual_cndmask_b32 v13, v9, v12 :: v_dual_mov_b32 v12, v8
	s_delay_alu instid0(VALU_DEP_1)
	v_cmpx_ngt_f64_e32 v[10:11], v[12:13]
	s_xor_b32 s2, exec_lo, s2
	s_cbranch_execz .LBB43_66
; %bb.63:
	v_mov_b64_e32 v[18:19], 0
	s_mov_b32 s5, exec_lo
	v_cmpx_neq_f64_e32 0, v[8:9]
	s_cbranch_execz .LBB43_65
; %bb.64:
	v_div_scale_f64 v[18:19], null, v[12:13], v[12:13], v[10:11]
	v_div_scale_f64 v[26:27], vcc_lo, v[10:11], v[12:13], v[10:11]
	s_delay_alu instid0(VALU_DEP_2) | instskip(SKIP_1) | instid1(TRANS32_DEP_1)
	v_rcp_f64_e32 v[20:21], v[18:19]
	v_nop
	v_fma_f64 v[24:25], -v[18:19], v[20:21], 1.0
	s_delay_alu instid0(VALU_DEP_1) | instskip(NEXT) | instid1(VALU_DEP_1)
	v_fmac_f64_e32 v[20:21], v[20:21], v[24:25]
	v_fma_f64 v[24:25], -v[18:19], v[20:21], 1.0
	s_delay_alu instid0(VALU_DEP_1) | instskip(NEXT) | instid1(VALU_DEP_1)
	v_fmac_f64_e32 v[20:21], v[20:21], v[24:25]
	v_mul_f64_e32 v[24:25], v[26:27], v[20:21]
	s_delay_alu instid0(VALU_DEP_1) | instskip(NEXT) | instid1(VALU_DEP_1)
	v_fma_f64 v[18:19], -v[18:19], v[24:25], v[26:27]
	v_div_fmas_f64 v[18:19], v[18:19], v[20:21], v[24:25]
	s_delay_alu instid0(VALU_DEP_1) | instskip(NEXT) | instid1(VALU_DEP_1)
	v_div_fixup_f64 v[10:11], v[18:19], v[12:13], v[10:11]
	v_fma_f64 v[10:11], v[10:11], v[10:11], 1.0
	s_delay_alu instid0(VALU_DEP_1) | instskip(SKIP_1) | instid1(VALU_DEP_1)
	v_cmp_gt_f64_e32 vcc_lo, 0x10000000, v[10:11]
	v_cndmask_b32_e64 v18, 0, 0x100, vcc_lo
	v_ldexp_f64 v[10:11], v[10:11], v18
	s_delay_alu instid0(VALU_DEP_1) | instskip(SKIP_1) | instid1(TRANS32_DEP_1)
	v_rsq_f64_e32 v[18:19], v[10:11]
	v_nop
	v_mul_f64_e32 v[20:21], v[10:11], v[18:19]
	v_mul_f64_e32 v[18:19], 0.5, v[18:19]
	s_delay_alu instid0(VALU_DEP_1) | instskip(NEXT) | instid1(VALU_DEP_1)
	v_fma_f64 v[24:25], -v[18:19], v[20:21], 0.5
	v_fmac_f64_e32 v[20:21], v[20:21], v[24:25]
	v_fmac_f64_e32 v[18:19], v[18:19], v[24:25]
	s_delay_alu instid0(VALU_DEP_2) | instskip(NEXT) | instid1(VALU_DEP_1)
	v_fma_f64 v[24:25], -v[20:21], v[20:21], v[10:11]
	v_fmac_f64_e32 v[20:21], v[24:25], v[18:19]
	s_delay_alu instid0(VALU_DEP_1) | instskip(NEXT) | instid1(VALU_DEP_1)
	v_fma_f64 v[24:25], -v[20:21], v[20:21], v[10:11]
	v_fmac_f64_e32 v[20:21], v[24:25], v[18:19]
	v_cndmask_b32_e64 v18, 0, 0xffffff80, vcc_lo
	v_cmp_class_f64_e64 vcc_lo, v[10:11], 0x260
	s_delay_alu instid0(VALU_DEP_2) | instskip(NEXT) | instid1(VALU_DEP_1)
	v_ldexp_f64 v[18:19], v[20:21], v18
	v_dual_cndmask_b32 v11, v19, v11 :: v_dual_cndmask_b32 v10, v18, v10
	s_delay_alu instid0(VALU_DEP_1)
	v_mul_f64_e32 v[18:19], v[12:13], v[10:11]
.LBB43_65:
	s_or_b32 exec_lo, exec_lo, s5
                                        ; implicit-def: $vgpr10_vgpr11
                                        ; implicit-def: $vgpr12_vgpr13
.LBB43_66:
	s_and_not1_saveexec_b32 s2, s2
	s_cbranch_execz .LBB43_68
; %bb.67:
	v_div_scale_f64 v[18:19], null, v[10:11], v[10:11], v[12:13]
	v_div_scale_f64 v[26:27], vcc_lo, v[12:13], v[10:11], v[12:13]
	s_delay_alu instid0(VALU_DEP_2) | instskip(SKIP_1) | instid1(TRANS32_DEP_1)
	v_rcp_f64_e32 v[20:21], v[18:19]
	v_nop
	v_fma_f64 v[24:25], -v[18:19], v[20:21], 1.0
	s_delay_alu instid0(VALU_DEP_1) | instskip(NEXT) | instid1(VALU_DEP_1)
	v_fmac_f64_e32 v[20:21], v[20:21], v[24:25]
	v_fma_f64 v[24:25], -v[18:19], v[20:21], 1.0
	s_delay_alu instid0(VALU_DEP_1) | instskip(NEXT) | instid1(VALU_DEP_1)
	v_fmac_f64_e32 v[20:21], v[20:21], v[24:25]
	v_mul_f64_e32 v[24:25], v[26:27], v[20:21]
	s_delay_alu instid0(VALU_DEP_1) | instskip(NEXT) | instid1(VALU_DEP_1)
	v_fma_f64 v[18:19], -v[18:19], v[24:25], v[26:27]
	v_div_fmas_f64 v[18:19], v[18:19], v[20:21], v[24:25]
	s_delay_alu instid0(VALU_DEP_1) | instskip(NEXT) | instid1(VALU_DEP_1)
	v_div_fixup_f64 v[12:13], v[18:19], v[10:11], v[12:13]
	v_fma_f64 v[12:13], v[12:13], v[12:13], 1.0
	s_delay_alu instid0(VALU_DEP_1) | instskip(SKIP_1) | instid1(VALU_DEP_1)
	v_cmp_gt_f64_e32 vcc_lo, 0x10000000, v[12:13]
	v_cndmask_b32_e64 v18, 0, 0x100, vcc_lo
	v_ldexp_f64 v[12:13], v[12:13], v18
	s_delay_alu instid0(VALU_DEP_1) | instskip(SKIP_1) | instid1(TRANS32_DEP_1)
	v_rsq_f64_e32 v[18:19], v[12:13]
	v_nop
	v_mul_f64_e32 v[20:21], v[12:13], v[18:19]
	v_mul_f64_e32 v[18:19], 0.5, v[18:19]
	s_delay_alu instid0(VALU_DEP_1) | instskip(NEXT) | instid1(VALU_DEP_1)
	v_fma_f64 v[24:25], -v[18:19], v[20:21], 0.5
	v_fmac_f64_e32 v[20:21], v[20:21], v[24:25]
	v_fmac_f64_e32 v[18:19], v[18:19], v[24:25]
	s_delay_alu instid0(VALU_DEP_2) | instskip(NEXT) | instid1(VALU_DEP_1)
	v_fma_f64 v[24:25], -v[20:21], v[20:21], v[12:13]
	v_fmac_f64_e32 v[20:21], v[24:25], v[18:19]
	s_delay_alu instid0(VALU_DEP_1) | instskip(NEXT) | instid1(VALU_DEP_1)
	v_fma_f64 v[24:25], -v[20:21], v[20:21], v[12:13]
	v_fmac_f64_e32 v[20:21], v[24:25], v[18:19]
	v_cndmask_b32_e64 v18, 0, 0xffffff80, vcc_lo
	v_cmp_class_f64_e64 vcc_lo, v[12:13], 0x260
	s_delay_alu instid0(VALU_DEP_2) | instskip(NEXT) | instid1(VALU_DEP_1)
	v_ldexp_f64 v[18:19], v[20:21], v18
	v_dual_cndmask_b32 v13, v19, v13 :: v_dual_cndmask_b32 v12, v18, v12
	s_delay_alu instid0(VALU_DEP_1)
	v_mul_f64_e32 v[18:19], v[10:11], v[12:13]
.LBB43_68:
	s_or_b32 exec_lo, exec_lo, s2
	v_cmp_ne_u32_e32 vcc_lo, 1, v17
	v_cmp_eq_u32_e64 s2, 0, v22
	s_mov_b32 s5, -1
	s_cbranch_vccnz .LBB43_72
; %bb.69:
	v_cvt_f64_f32_e32 v[10:11], s3
	s_cmp_eq_u64 s[20:21], 8
	s_cselect_b32 vcc_lo, -1, 0
	s_delay_alu instid0(VALU_DEP_1) | instskip(NEXT) | instid1(VALU_DEP_1)
	v_dual_cndmask_b32 v11, v11, v15 :: v_dual_cndmask_b32 v10, v10, v14
	v_cmp_le_f64_e32 vcc_lo, v[18:19], v[10:11]
	s_and_b32 s5, s2, vcc_lo
	s_delay_alu instid0(SALU_CYCLE_1)
	s_and_saveexec_b32 s3, s5
	s_cbranch_execz .LBB43_71
; %bb.70:
	v_mov_b32_e32 v17, 0
	s_delay_alu instid0(VALU_DEP_1)
	v_lshl_add_u64 v[10:11], v[16:17], 4, s[8:9]
	global_store_b128 v[10:11], v[2:5], off
	global_wb scope:SCOPE_DEV
	s_wait_storecnt 0x0
	global_inv scope:SCOPE_DEV
.LBB43_71:
	s_wait_xcnt 0x0
	s_or_b32 exec_lo, exec_lo, s3
	s_mov_b32 s5, 0
.LBB43_72:
	s_delay_alu instid0(SALU_CYCLE_1)
	s_and_not1_b32 vcc_lo, exec_lo, s5
	s_cbranch_vccnz .LBB43_83
; %bb.73:
	s_load_b64 s[0:1], s[0:1], 0x48
	v_add_nc_u32_e32 v2, s28, v0
	s_wait_kmcnt 0x0
	v_cmp_ge_f64_e32 vcc_lo, s[0:1], v[18:19]
	s_and_b32 s1, s2, vcc_lo
	s_delay_alu instid0(SALU_CYCLE_1)
	s_and_saveexec_b32 s0, s1
	s_cbranch_execz .LBB43_78
; %bb.74:
	s_mov_b32 s3, exec_lo
	s_brev_b32 s1, -2
.LBB43_75:                              ; =>This Inner Loop Header: Depth=1
	s_ctz_i32_b32 s5, s3
	s_delay_alu instid0(SALU_CYCLE_1) | instskip(SKIP_1) | instid1(SALU_CYCLE_1)
	v_readlane_b32 s6, v2, s5
	s_lshl_b32 s5, 1, s5
	s_and_not1_b32 s3, s3, s5
	s_min_i32 s1, s1, s6
	s_cmp_lg_u32 s3, 0
	s_cbranch_scc1 .LBB43_75
; %bb.76:
	v_mbcnt_lo_u32_b32 v3, exec_lo, 0
	s_mov_b32 s3, exec_lo
	s_delay_alu instid0(VALU_DEP_1)
	v_cmpx_eq_u32_e32 0, v3
	s_xor_b32 s3, exec_lo, s3
	s_cbranch_execz .LBB43_78
; %bb.77:
	v_dual_mov_b32 v3, 0 :: v_dual_mov_b32 v4, s1
	global_atomic_min_i32 v3, v4, s[18:19] scope:SCOPE_DEV
.LBB43_78:
	s_wait_xcnt 0x0
	s_or_b32 exec_lo, exec_lo, s0
	v_cmp_eq_f64_e32 vcc_lo, 0, v[6:7]
	v_cmp_eq_f64_e64 s0, 0, v[8:9]
	s_and_b32 s0, vcc_lo, s0
	s_delay_alu instid0(SALU_CYCLE_1) | instskip(NEXT) | instid1(SALU_CYCLE_1)
	s_and_b32 s0, s2, s0
	s_and_b32 exec_lo, exec_lo, s0
	s_cbranch_execz .LBB43_83
; %bb.79:
	s_mov_b32 s1, exec_lo
	s_brev_b32 s0, -2
.LBB43_80:                              ; =>This Inner Loop Header: Depth=1
	s_ctz_i32_b32 s2, s1
	s_delay_alu instid0(SALU_CYCLE_1) | instskip(SKIP_1) | instid1(SALU_CYCLE_1)
	v_readlane_b32 s3, v2, s2
	s_lshl_b32 s2, 1, s2
	s_and_not1_b32 s1, s1, s2
	s_min_i32 s0, s0, s3
	s_cmp_lg_u32 s1, 0
	s_cbranch_scc1 .LBB43_80
; %bb.81:
	v_mbcnt_lo_u32_b32 v2, exec_lo, 0
	s_mov_b32 s1, exec_lo
	s_delay_alu instid0(VALU_DEP_1)
	v_cmpx_eq_u32_e32 0, v2
	s_xor_b32 s1, exec_lo, s1
	s_cbranch_execz .LBB43_83
; %bb.82:
	v_dual_mov_b32 v2, 0 :: v_dual_mov_b32 v3, s0
	global_atomic_min_i32 v2, v3, s[16:17] scope:SCOPE_DEV
.LBB43_83:
	s_wait_xcnt 0x0
	s_or_b32 exec_lo, exec_lo, s4
	v_cmp_eq_u32_e32 vcc_lo, 0, v22
	global_wb scope:SCOPE_DEV
	s_wait_loadcnt 0x0
	s_wait_storecnt 0x0
	global_inv scope:SCOPE_DEV
	s_and_b32 exec_lo, exec_lo, vcc_lo
	s_cbranch_execz .LBB43_85
; %bb.84:
	v_lshl_add_u64 v[0:1], v[0:1], 2, s[12:13]
	v_mov_b32_e32 v2, 1
	global_wb scope:SCOPE_DEV
	s_wait_loadcnt 0x0
	s_wait_storecnt 0x0
	global_store_b32 v[0:1], v2, off scope:SCOPE_DEV
.LBB43_85:
	s_endpgm
	.section	.rodata,"a",@progbits
	.p2align	6, 0x0
	.amdhsa_kernel _ZN9rocsparseL12csrilu0_hashILj256ELj32ELj8E21rocsparse_complex_numIdEEEviPKiS4_PT2_S4_PiS4_S7_S7_d21rocsparse_index_base_imNS_24const_host_device_scalarIfEENS9_IdEENS9_IS5_EEb
		.amdhsa_group_segment_fixed_size 16384
		.amdhsa_private_segment_fixed_size 16
		.amdhsa_kernarg_size 132
		.amdhsa_user_sgpr_count 2
		.amdhsa_user_sgpr_dispatch_ptr 0
		.amdhsa_user_sgpr_queue_ptr 0
		.amdhsa_user_sgpr_kernarg_segment_ptr 1
		.amdhsa_user_sgpr_dispatch_id 0
		.amdhsa_user_sgpr_kernarg_preload_length 0
		.amdhsa_user_sgpr_kernarg_preload_offset 0
		.amdhsa_user_sgpr_private_segment_size 0
		.amdhsa_wavefront_size32 1
		.amdhsa_uses_dynamic_stack 0
		.amdhsa_enable_private_segment 1
		.amdhsa_system_sgpr_workgroup_id_x 1
		.amdhsa_system_sgpr_workgroup_id_y 0
		.amdhsa_system_sgpr_workgroup_id_z 0
		.amdhsa_system_sgpr_workgroup_info 0
		.amdhsa_system_vgpr_workitem_id 0
		.amdhsa_next_free_vgpr 38
		.amdhsa_next_free_sgpr 40
		.amdhsa_named_barrier_count 0
		.amdhsa_reserve_vcc 1
		.amdhsa_float_round_mode_32 0
		.amdhsa_float_round_mode_16_64 0
		.amdhsa_float_denorm_mode_32 3
		.amdhsa_float_denorm_mode_16_64 3
		.amdhsa_fp16_overflow 0
		.amdhsa_memory_ordered 1
		.amdhsa_forward_progress 1
		.amdhsa_inst_pref_size 29
		.amdhsa_round_robin_scheduling 0
		.amdhsa_exception_fp_ieee_invalid_op 0
		.amdhsa_exception_fp_denorm_src 0
		.amdhsa_exception_fp_ieee_div_zero 0
		.amdhsa_exception_fp_ieee_overflow 0
		.amdhsa_exception_fp_ieee_underflow 0
		.amdhsa_exception_fp_ieee_inexact 0
		.amdhsa_exception_int_div_zero 0
	.end_amdhsa_kernel
	.section	.text._ZN9rocsparseL12csrilu0_hashILj256ELj32ELj8E21rocsparse_complex_numIdEEEviPKiS4_PT2_S4_PiS4_S7_S7_d21rocsparse_index_base_imNS_24const_host_device_scalarIfEENS9_IdEENS9_IS5_EEb,"axG",@progbits,_ZN9rocsparseL12csrilu0_hashILj256ELj32ELj8E21rocsparse_complex_numIdEEEviPKiS4_PT2_S4_PiS4_S7_S7_d21rocsparse_index_base_imNS_24const_host_device_scalarIfEENS9_IdEENS9_IS5_EEb,comdat
.Lfunc_end43:
	.size	_ZN9rocsparseL12csrilu0_hashILj256ELj32ELj8E21rocsparse_complex_numIdEEEviPKiS4_PT2_S4_PiS4_S7_S7_d21rocsparse_index_base_imNS_24const_host_device_scalarIfEENS9_IdEENS9_IS5_EEb, .Lfunc_end43-_ZN9rocsparseL12csrilu0_hashILj256ELj32ELj8E21rocsparse_complex_numIdEEEviPKiS4_PT2_S4_PiS4_S7_S7_d21rocsparse_index_base_imNS_24const_host_device_scalarIfEENS9_IdEENS9_IS5_EEb
                                        ; -- End function
	.set _ZN9rocsparseL12csrilu0_hashILj256ELj32ELj8E21rocsparse_complex_numIdEEEviPKiS4_PT2_S4_PiS4_S7_S7_d21rocsparse_index_base_imNS_24const_host_device_scalarIfEENS9_IdEENS9_IS5_EEb.num_vgpr, 38
	.set _ZN9rocsparseL12csrilu0_hashILj256ELj32ELj8E21rocsparse_complex_numIdEEEviPKiS4_PT2_S4_PiS4_S7_S7_d21rocsparse_index_base_imNS_24const_host_device_scalarIfEENS9_IdEENS9_IS5_EEb.num_agpr, 0
	.set _ZN9rocsparseL12csrilu0_hashILj256ELj32ELj8E21rocsparse_complex_numIdEEEviPKiS4_PT2_S4_PiS4_S7_S7_d21rocsparse_index_base_imNS_24const_host_device_scalarIfEENS9_IdEENS9_IS5_EEb.numbered_sgpr, 40
	.set _ZN9rocsparseL12csrilu0_hashILj256ELj32ELj8E21rocsparse_complex_numIdEEEviPKiS4_PT2_S4_PiS4_S7_S7_d21rocsparse_index_base_imNS_24const_host_device_scalarIfEENS9_IdEENS9_IS5_EEb.num_named_barrier, 0
	.set _ZN9rocsparseL12csrilu0_hashILj256ELj32ELj8E21rocsparse_complex_numIdEEEviPKiS4_PT2_S4_PiS4_S7_S7_d21rocsparse_index_base_imNS_24const_host_device_scalarIfEENS9_IdEENS9_IS5_EEb.private_seg_size, 16
	.set _ZN9rocsparseL12csrilu0_hashILj256ELj32ELj8E21rocsparse_complex_numIdEEEviPKiS4_PT2_S4_PiS4_S7_S7_d21rocsparse_index_base_imNS_24const_host_device_scalarIfEENS9_IdEENS9_IS5_EEb.uses_vcc, 1
	.set _ZN9rocsparseL12csrilu0_hashILj256ELj32ELj8E21rocsparse_complex_numIdEEEviPKiS4_PT2_S4_PiS4_S7_S7_d21rocsparse_index_base_imNS_24const_host_device_scalarIfEENS9_IdEENS9_IS5_EEb.uses_flat_scratch, 0
	.set _ZN9rocsparseL12csrilu0_hashILj256ELj32ELj8E21rocsparse_complex_numIdEEEviPKiS4_PT2_S4_PiS4_S7_S7_d21rocsparse_index_base_imNS_24const_host_device_scalarIfEENS9_IdEENS9_IS5_EEb.has_dyn_sized_stack, 0
	.set _ZN9rocsparseL12csrilu0_hashILj256ELj32ELj8E21rocsparse_complex_numIdEEEviPKiS4_PT2_S4_PiS4_S7_S7_d21rocsparse_index_base_imNS_24const_host_device_scalarIfEENS9_IdEENS9_IS5_EEb.has_recursion, 0
	.set _ZN9rocsparseL12csrilu0_hashILj256ELj32ELj8E21rocsparse_complex_numIdEEEviPKiS4_PT2_S4_PiS4_S7_S7_d21rocsparse_index_base_imNS_24const_host_device_scalarIfEENS9_IdEENS9_IS5_EEb.has_indirect_call, 0
	.section	.AMDGPU.csdata,"",@progbits
; Kernel info:
; codeLenInByte = 3624
; TotalNumSgprs: 42
; NumVgprs: 38
; ScratchSize: 16
; MemoryBound: 0
; FloatMode: 240
; IeeeMode: 1
; LDSByteSize: 16384 bytes/workgroup (compile time only)
; SGPRBlocks: 0
; VGPRBlocks: 2
; NumSGPRsForWavesPerEU: 42
; NumVGPRsForWavesPerEU: 38
; NamedBarCnt: 0
; Occupancy: 16
; WaveLimiterHint : 1
; COMPUTE_PGM_RSRC2:SCRATCH_EN: 1
; COMPUTE_PGM_RSRC2:USER_SGPR: 2
; COMPUTE_PGM_RSRC2:TRAP_HANDLER: 0
; COMPUTE_PGM_RSRC2:TGID_X_EN: 1
; COMPUTE_PGM_RSRC2:TGID_Y_EN: 0
; COMPUTE_PGM_RSRC2:TGID_Z_EN: 0
; COMPUTE_PGM_RSRC2:TIDIG_COMP_CNT: 0
	.section	.text._ZN9rocsparseL12csrilu0_hashILj256ELj32ELj16E21rocsparse_complex_numIdEEEviPKiS4_PT2_S4_PiS4_S7_S7_d21rocsparse_index_base_imNS_24const_host_device_scalarIfEENS9_IdEENS9_IS5_EEb,"axG",@progbits,_ZN9rocsparseL12csrilu0_hashILj256ELj32ELj16E21rocsparse_complex_numIdEEEviPKiS4_PT2_S4_PiS4_S7_S7_d21rocsparse_index_base_imNS_24const_host_device_scalarIfEENS9_IdEENS9_IS5_EEb,comdat
	.globl	_ZN9rocsparseL12csrilu0_hashILj256ELj32ELj16E21rocsparse_complex_numIdEEEviPKiS4_PT2_S4_PiS4_S7_S7_d21rocsparse_index_base_imNS_24const_host_device_scalarIfEENS9_IdEENS9_IS5_EEb ; -- Begin function _ZN9rocsparseL12csrilu0_hashILj256ELj32ELj16E21rocsparse_complex_numIdEEEviPKiS4_PT2_S4_PiS4_S7_S7_d21rocsparse_index_base_imNS_24const_host_device_scalarIfEENS9_IdEENS9_IS5_EEb
	.p2align	8
	.type	_ZN9rocsparseL12csrilu0_hashILj256ELj32ELj16E21rocsparse_complex_numIdEEEviPKiS4_PT2_S4_PiS4_S7_S7_d21rocsparse_index_base_imNS_24const_host_device_scalarIfEENS9_IdEENS9_IS5_EEb,@function
_ZN9rocsparseL12csrilu0_hashILj256ELj32ELj16E21rocsparse_complex_numIdEEEviPKiS4_PT2_S4_PiS4_S7_S7_d21rocsparse_index_base_imNS_24const_host_device_scalarIfEENS9_IdEENS9_IS5_EEb: ; @_ZN9rocsparseL12csrilu0_hashILj256ELj32ELj16E21rocsparse_complex_numIdEEEviPKiS4_PT2_S4_PiS4_S7_S7_d21rocsparse_index_base_imNS_24const_host_device_scalarIfEENS9_IdEENS9_IS5_EEb
; %bb.0:
	s_clause 0x2
	s_load_b96 s[4:6], s[0:1], 0x78
	s_load_b64 s[28:29], s[0:1], 0x50
	s_load_b256 s[20:27], s[0:1], 0x58
	s_wait_kmcnt 0x0
	s_bitcmp1_b32 s6, 0
	s_cselect_b32 s2, -1, 0
	s_cmp_eq_u32 s29, 0
	v_mov_b64_e32 v[2:3], s[26:27]
	s_cselect_b32 s3, -1, 0
	s_cmp_lg_u32 s29, 0
	s_cselect_b32 s8, -1, 0
	s_or_b32 s10, s3, s2
	s_delay_alu instid0(SALU_CYCLE_1)
	s_xor_b32 s9, s10, -1
	s_and_b32 s3, s3, exec_lo
	s_cselect_b32 s7, 0, s25
	s_cselect_b32 s6, 0, s24
	;; [unrolled: 1-line block ×3, first 2 shown]
	s_and_b32 vcc_lo, exec_lo, s10
	scratch_store_b64 off, v[2:3], off
	s_cbranch_vccnz .LBB44_2
; %bb.1:
	s_load_b32 s3, s[22:23], 0x0
	s_mov_b64 s[6:7], s[24:25]
.LBB44_2:
	s_delay_alu instid0(SALU_CYCLE_1)
	v_mov_b64_e32 v[16:17], s[6:7]
	s_and_not1_b32 vcc_lo, exec_lo, s9
	s_cbranch_vccnz .LBB44_4
; %bb.3:
	v_mov_b32_e32 v1, 0
	flat_load_b64 v[16:17], v1, s[24:25]
.LBB44_4:
	v_mov_b64_e32 v[4:5], 0
	s_wait_xcnt 0x0
	v_mov_b64_e32 v[2:3], 0
	v_cndmask_b32_e64 v19, 0, 1, s8
	s_and_not1_b32 vcc_lo, exec_lo, s8
	s_cbranch_vccnz .LBB44_7
; %bb.5:
	v_mbcnt_lo_u32_b32 v1, -1, 0
	v_mov_b32_e32 v2, 0
	v_mov_b64_e32 v[4:5], s[4:5]
	s_delay_alu instid0(VALU_DEP_3) | instskip(NEXT) | instid1(VALU_DEP_1)
	v_lshlrev_b32_e32 v3, 20, v1
	v_add_nc_u64_e32 v[2:3], src_flat_scratch_base_lo, v[2:3]
	s_delay_alu instid0(VALU_DEP_1) | instskip(NEXT) | instid1(VALU_DEP_2)
	v_cndmask_b32_e64 v3, s27, v3, s2
	v_cndmask_b32_e64 v2, s26, v2, s2
	s_xor_b32 s2, s2, -1
	s_delay_alu instid0(SALU_CYCLE_1)
	s_and_not1_b32 vcc_lo, exec_lo, s2
	flat_load_b64 v[2:3], v[2:3]
	s_cbranch_vccnz .LBB44_7
; %bb.6:
	v_mov_b32_e32 v1, 0
	flat_load_b64 v[4:5], v1, s[26:27] offset:8
.LBB44_7:
	s_wait_xcnt 0x0
	v_dual_lshrrev_b32 v1, 5, v0 :: v_dual_bitop2_b32 v22, 31, v0 bitop3:0x40
	s_mov_b32 s2, 0
	s_delay_alu instid0(VALU_DEP_1) | instskip(SKIP_1) | instid1(VALU_DEP_2)
	v_dual_lshlrev_b32 v7, 11, v1 :: v_dual_lshlrev_b32 v8, 2, v22
	v_or_b32_e32 v6, 0xffffffe0, v22
	v_or3_b32 v7, v7, v8, 0x4000
	v_mov_b32_e32 v8, -1
.LBB44_8:                               ; =>This Inner Loop Header: Depth=1
	s_delay_alu instid0(VALU_DEP_3) | instskip(SKIP_4) | instid1(SALU_CYCLE_1)
	v_add_nc_u32_e32 v6, 32, v6
	ds_store_b32 v7, v8
	v_add_nc_u32_e32 v7, 0x80, v7
	v_cmp_lt_u32_e32 vcc_lo, 0x1df, v6
	s_or_b32 s2, vcc_lo, s2
	s_and_not1_b32 exec_lo, exec_lo, s2
	s_cbranch_execnz .LBB44_8
; %bb.9:
	s_or_b32 exec_lo, exec_lo, s2
	s_load_b32 s2, s[0:1], 0x0
	s_bfe_u32 s4, ttmp6, 0x4000c
	s_and_b32 s5, ttmp6, 15
	s_add_co_i32 s4, s4, 1
	s_getreg_b32 s6, hwreg(HW_REG_IB_STS2, 6, 4)
	s_mul_i32 s4, ttmp9, s4
	s_wait_storecnt 0x0
	s_wait_loadcnt_dscnt 0x0
	s_add_co_i32 s5, s5, s4
	s_cmp_eq_u32 s6, 0
	s_cselect_b32 s4, ttmp9, s5
	s_delay_alu instid0(SALU_CYCLE_1) | instskip(NEXT) | instid1(SALU_CYCLE_1)
	s_lshl_b32 s4, s4, 3
	v_and_or_b32 v1, 0x7fffff8, s4, v1
	s_wait_kmcnt 0x0
	s_delay_alu instid0(VALU_DEP_1)
	v_cmp_gt_i32_e32 vcc_lo, s2, v1
	s_and_saveexec_b32 s2, vcc_lo
	s_cbranch_execz .LBB44_87
; %bb.10:
	s_load_b512 s[4:19], s[0:1], 0x8
	s_mov_b32 s2, exec_lo
	s_wait_kmcnt 0x0
	global_load_b32 v14, v1, s[14:15] scale_offset
	s_wait_xcnt 0x0
	v_lshlrev_b32_e32 v1, 6, v0
	s_delay_alu instid0(VALU_DEP_1) | instskip(NEXT) | instid1(VALU_DEP_1)
	v_and_b32_e32 v23, 0x3800, v1
	v_or_b32_e32 v24, 0x4000, v23
	s_wait_loadcnt 0x0
	v_ashrrev_i32_e32 v15, 31, v14
	s_delay_alu instid0(VALU_DEP_1)
	v_lshl_add_u64 v[6:7], v[14:15], 2, s[4:5]
	global_load_b64 v[8:9], v[6:7], off
	global_load_b32 v18, v14, s[10:11] scale_offset
	s_wait_loadcnt 0x1
	v_subrev_nc_u32_e32 v0, s28, v8
	v_subrev_nc_u32_e32 v1, s28, v9
	s_delay_alu instid0(VALU_DEP_2) | instskip(SKIP_1) | instid1(VALU_DEP_1)
	v_add_nc_u32_e32 v6, v0, v22
	s_wait_xcnt 0x0
	v_cmpx_lt_i32_e64 v6, v1
	s_cbranch_execz .LBB44_33
; %bb.11:
	v_mov_b32_e32 v7, -1
	s_mov_b32 s14, 0
	s_branch .LBB44_13
.LBB44_12:                              ;   in Loop: Header=BB44_13 Depth=1
	s_or_b32 exec_lo, exec_lo, s15
	v_add_nc_u32_e32 v6, 32, v6
	s_delay_alu instid0(VALU_DEP_1) | instskip(SKIP_1) | instid1(SALU_CYCLE_1)
	v_cmp_ge_i32_e32 vcc_lo, v6, v1
	s_or_b32 s14, vcc_lo, s14
	s_and_not1_b32 exec_lo, exec_lo, s14
	s_cbranch_execz .LBB44_33
.LBB44_13:                              ; =>This Loop Header: Depth=1
                                        ;     Child Loop BB44_22 Depth 2
	global_load_b32 v8, v6, s[6:7] scale_offset
	v_mov_b32_e32 v9, 0x200
	s_mov_b32 s15, 0
                                        ; implicit-def: $sgpr22
                                        ; implicit-def: $sgpr23
                                        ; implicit-def: $sgpr24
	s_wait_loadcnt 0x0
	v_mul_lo_u32 v11, 0x67, v8
	s_branch .LBB44_22
.LBB44_14:                              ;   in Loop: Header=BB44_22 Depth=2
	s_or_b32 exec_lo, exec_lo, s36
	s_delay_alu instid0(SALU_CYCLE_1)
	s_or_not1_b32 s34, s34, exec_lo
	s_or_not1_b32 s35, s35, exec_lo
.LBB44_15:                              ;   in Loop: Header=BB44_22 Depth=2
	s_or_b32 exec_lo, exec_lo, s33
	s_delay_alu instid0(SALU_CYCLE_1)
	s_and_b32 s34, s34, exec_lo
	s_or_not1_b32 s33, s35, exec_lo
.LBB44_16:                              ;   in Loop: Header=BB44_22 Depth=2
	s_or_b32 exec_lo, exec_lo, s31
	s_delay_alu instid0(SALU_CYCLE_1)
	s_or_not1_b32 s31, s34, exec_lo
	s_or_not1_b32 s33, s33, exec_lo
.LBB44_17:                              ;   in Loop: Header=BB44_22 Depth=2
	s_or_b32 exec_lo, exec_lo, s30
	s_delay_alu instid0(SALU_CYCLE_1)
	s_and_b32 s31, s31, exec_lo
	s_or_not1_b32 s30, s33, exec_lo
.LBB44_18:                              ;   in Loop: Header=BB44_22 Depth=2
	s_or_b32 exec_lo, exec_lo, s29
	s_delay_alu instid0(SALU_CYCLE_1)
	s_or_not1_b32 s29, s31, exec_lo
	s_or_not1_b32 s30, s30, exec_lo
.LBB44_19:                              ;   in Loop: Header=BB44_22 Depth=2
	s_or_b32 exec_lo, exec_lo, s27
	s_delay_alu instid0(SALU_CYCLE_1)
	s_and_b32 s29, s29, exec_lo
	s_or_not1_b32 s27, s30, exec_lo
.LBB44_20:                              ;   in Loop: Header=BB44_22 Depth=2
	s_or_b32 exec_lo, exec_lo, s26
	s_delay_alu instid0(SALU_CYCLE_1)
	s_and_not1_b32 s24, s24, exec_lo
	s_and_b32 s26, s29, exec_lo
	s_and_not1_b32 s23, s23, exec_lo
	s_and_b32 s27, s27, exec_lo
	s_or_b32 s24, s24, s26
	s_or_b32 s23, s23, s27
.LBB44_21:                              ;   in Loop: Header=BB44_22 Depth=2
	s_or_b32 exec_lo, exec_lo, s25
	s_delay_alu instid0(SALU_CYCLE_1) | instskip(NEXT) | instid1(SALU_CYCLE_1)
	s_and_b32 s25, exec_lo, s23
	s_or_b32 s15, s25, s15
	s_and_not1_b32 s22, s22, exec_lo
	s_and_b32 s25, s24, exec_lo
	s_delay_alu instid0(SALU_CYCLE_1)
	s_or_b32 s22, s22, s25
	s_and_not1_b32 exec_lo, exec_lo, s15
	s_cbranch_execz .LBB44_31
.LBB44_22:                              ;   Parent Loop BB44_13 Depth=1
                                        ; =>  This Inner Loop Header: Depth=2
	s_delay_alu instid0(VALU_DEP_1) | instskip(SKIP_3) | instid1(VALU_DEP_1)
	v_and_b32_e32 v10, 0x1ff, v11
	s_or_b32 s24, s24, exec_lo
	s_or_b32 s23, s23, exec_lo
	s_mov_b32 s25, exec_lo
	v_lshl_add_u32 v12, v10, 2, v24
	ds_load_b32 v13, v12
	s_wait_dscnt 0x0
	s_wait_xcnt 0x0
	v_cmpx_ne_u32_e64 v13, v8
	s_cbranch_execz .LBB44_21
; %bb.23:                               ;   in Loop: Header=BB44_22 Depth=2
	ds_cmpstore_rtn_b32 v12, v12, v8, v7
	s_mov_b32 s27, -1
	s_mov_b32 s29, 0
	s_mov_b32 s26, exec_lo
	s_wait_dscnt 0x0
	v_cmpx_ne_u32_e32 -1, v12
	s_cbranch_execz .LBB44_20
; %bb.24:                               ;   in Loop: Header=BB44_22 Depth=2
	v_add_nc_u32_e32 v10, 1, v11
	s_mov_b32 s30, -1
	s_mov_b32 s29, -1
	s_mov_b32 s27, exec_lo
	s_delay_alu instid0(VALU_DEP_1) | instskip(NEXT) | instid1(VALU_DEP_1)
	v_and_b32_e32 v10, 0x1ff, v10
	v_lshl_add_u32 v12, v10, 2, v24
	ds_load_b32 v13, v12
	s_wait_dscnt 0x0
	v_cmpx_ne_u32_e64 v13, v8
	s_cbranch_execz .LBB44_19
; %bb.25:                               ;   in Loop: Header=BB44_22 Depth=2
	ds_cmpstore_rtn_b32 v12, v12, v8, v7
	s_mov_b32 s31, 0
	s_mov_b32 s29, exec_lo
	s_wait_dscnt 0x0
	v_cmpx_ne_u32_e32 -1, v12
	s_cbranch_execz .LBB44_18
; %bb.26:                               ;   in Loop: Header=BB44_22 Depth=2
	v_add_nc_u32_e32 v10, 2, v11
	s_mov_b32 s33, -1
	s_mov_b32 s31, -1
	s_mov_b32 s30, exec_lo
	s_delay_alu instid0(VALU_DEP_1) | instskip(NEXT) | instid1(VALU_DEP_1)
	v_and_b32_e32 v10, 0x1ff, v10
	v_lshl_add_u32 v12, v10, 2, v24
	ds_load_b32 v13, v12
	s_wait_dscnt 0x0
	v_cmpx_ne_u32_e64 v13, v8
	s_cbranch_execz .LBB44_17
; %bb.27:                               ;   in Loop: Header=BB44_22 Depth=2
	ds_cmpstore_rtn_b32 v12, v12, v8, v7
	s_mov_b32 s34, 0
	s_mov_b32 s31, exec_lo
	s_wait_dscnt 0x0
	v_cmpx_ne_u32_e32 -1, v12
	s_cbranch_execz .LBB44_16
; %bb.28:                               ;   in Loop: Header=BB44_22 Depth=2
	v_add_nc_u32_e32 v10, 3, v11
	s_mov_b32 s35, -1
	s_mov_b32 s34, -1
	s_delay_alu instid0(VALU_DEP_1) | instskip(NEXT) | instid1(VALU_DEP_1)
	v_and_b32_e32 v10, 0x1ff, v10
	v_lshl_add_u32 v12, v10, 2, v24
	ds_load_b32 v11, v12
	s_wait_dscnt 0x0
	v_cmp_ne_u32_e32 vcc_lo, v11, v8
                                        ; implicit-def: $vgpr11
	s_and_saveexec_b32 s33, vcc_lo
	s_cbranch_execz .LBB44_15
; %bb.29:                               ;   in Loop: Header=BB44_22 Depth=2
	ds_cmpstore_rtn_b32 v11, v12, v8, v7
	s_mov_b32 s34, 0
	s_wait_dscnt 0x0
	v_cmp_ne_u32_e32 vcc_lo, -1, v11
                                        ; implicit-def: $vgpr11
	s_and_saveexec_b32 s36, vcc_lo
	s_cbranch_execz .LBB44_14
; %bb.30:                               ;   in Loop: Header=BB44_22 Depth=2
	v_dual_add_nc_u32 v9, -4, v9 :: v_dual_add_nc_u32 v11, 1, v10
	s_mov_b32 s34, exec_lo
	s_delay_alu instid0(VALU_DEP_1)
	v_cmp_eq_u32_e32 vcc_lo, 0, v9
	s_or_not1_b32 s35, vcc_lo, exec_lo
	s_branch .LBB44_14
.LBB44_31:                              ;   in Loop: Header=BB44_13 Depth=1
	s_or_b32 exec_lo, exec_lo, s15
	s_xor_b32 s15, s22, -1
	s_delay_alu instid0(SALU_CYCLE_1) | instskip(NEXT) | instid1(SALU_CYCLE_1)
	s_and_saveexec_b32 s22, s15
	s_xor_b32 s15, exec_lo, s22
	s_cbranch_execz .LBB44_12
; %bb.32:                               ;   in Loop: Header=BB44_13 Depth=1
	v_lshl_add_u32 v8, v10, 2, v23
	ds_store_b32 v8, v6
	s_branch .LBB44_12
.LBB44_33:
	s_or_b32 exec_lo, exec_lo, s2
	s_delay_alu instid0(SALU_CYCLE_1)
	s_mov_b32 s14, exec_lo
	s_wait_loadcnt_dscnt 0x0
	v_cmpx_lt_i32_e64 v0, v18
	s_cbranch_execz .LBB44_63
; %bb.34:
	v_add_nc_u32_e32 v25, 1, v22
	s_mov_b32 s15, 0
	s_branch .LBB44_37
.LBB44_35:                              ;   in Loop: Header=BB44_37 Depth=1
	s_or_b32 exec_lo, exec_lo, s22
	v_add_nc_u32_e32 v0, 1, v0
	s_delay_alu instid0(VALU_DEP_1)
	v_cmp_ge_i32_e32 vcc_lo, v0, v18
	s_or_not1_b32 s22, vcc_lo, exec_lo
.LBB44_36:                              ;   in Loop: Header=BB44_37 Depth=1
	s_or_b32 exec_lo, exec_lo, s2
	s_delay_alu instid0(SALU_CYCLE_1) | instskip(NEXT) | instid1(SALU_CYCLE_1)
	s_and_b32 s2, exec_lo, s22
	s_or_b32 s15, s2, s15
	s_delay_alu instid0(SALU_CYCLE_1)
	s_and_not1_b32 exec_lo, exec_lo, s15
	s_cbranch_execz .LBB44_63
.LBB44_37:                              ; =>This Loop Header: Depth=1
                                        ;     Child Loop BB44_38 Depth 2
                                        ;     Child Loop BB44_43 Depth 2
                                        ;       Child Loop BB44_52 Depth 3
	s_clause 0x1
	global_load_b32 v1, v0, s[6:7] scale_offset
	global_load_b128 v[6:9], v0, s[8:9] scale_offset
	s_mov_b32 s2, 0
	s_wait_loadcnt 0x1
	v_subrev_nc_u32_e32 v10, s28, v1
	v_ashrrev_i32_e32 v1, 31, v0
	s_clause 0x1
	global_load_b32 v13, v10, s[4:5] offset:4 scale_offset
	global_load_b32 v12, v10, s[10:11] scale_offset
	v_ashrrev_i32_e32 v11, 31, v10
	v_lshl_add_u64 v[20:21], v[0:1], 4, s[8:9]
	s_wait_xcnt 0x0
	s_delay_alu instid0(VALU_DEP_2)
	v_lshl_add_u64 v[10:11], v[10:11], 2, s[12:13]
.LBB44_38:                              ;   Parent Loop BB44_37 Depth=1
                                        ; =>  This Inner Loop Header: Depth=2
	global_load_b32 v1, v[10:11], off scope:SCOPE_DEV
	s_wait_loadcnt 0x0
	v_cmp_ne_u32_e32 vcc_lo, 0, v1
	s_or_b32 s2, vcc_lo, s2
	s_wait_xcnt 0x0
	s_and_not1_b32 exec_lo, exec_lo, s2
	s_cbranch_execnz .LBB44_38
; %bb.39:                               ;   in Loop: Header=BB44_37 Depth=1
	s_or_b32 exec_lo, exec_lo, s2
	v_subrev_nc_u32_e32 v1, s28, v13
	v_cmp_eq_u32_e32 vcc_lo, -1, v12
	global_inv scope:SCOPE_DEV
	s_mov_b32 s22, -1
	v_add_nc_u32_e32 v10, -1, v1
	s_delay_alu instid0(VALU_DEP_1)
	v_cndmask_b32_e32 v26, v12, v10, vcc_lo
	global_load_b128 v[10:13], v26, s[8:9] scale_offset
	s_wait_loadcnt 0x0
	v_cmp_neq_f64_e32 vcc_lo, 0, v[10:11]
	v_cmp_neq_f64_e64 s2, 0, v[12:13]
	s_or_b32 s23, vcc_lo, s2
	s_wait_xcnt 0x0
	s_and_saveexec_b32 s2, s23
	s_cbranch_execz .LBB44_36
; %bb.40:                               ;   in Loop: Header=BB44_37 Depth=1
	v_mul_f64_e32 v[28:29], v[12:13], v[12:13]
	s_mov_b32 s22, exec_lo
	s_delay_alu instid0(VALU_DEP_1) | instskip(NEXT) | instid1(VALU_DEP_1)
	v_fmac_f64_e32 v[28:29], v[10:11], v[10:11]
	v_div_scale_f64 v[30:31], null, v[28:29], v[28:29], 1.0
	v_div_scale_f64 v[36:37], vcc_lo, 1.0, v[28:29], 1.0
	s_delay_alu instid0(VALU_DEP_2) | instskip(SKIP_1) | instid1(TRANS32_DEP_1)
	v_rcp_f64_e32 v[32:33], v[30:31]
	v_nop
	v_fma_f64 v[34:35], -v[30:31], v[32:33], 1.0
	s_delay_alu instid0(VALU_DEP_1) | instskip(NEXT) | instid1(VALU_DEP_1)
	v_fmac_f64_e32 v[32:33], v[32:33], v[34:35]
	v_fma_f64 v[34:35], -v[30:31], v[32:33], 1.0
	s_delay_alu instid0(VALU_DEP_1) | instskip(NEXT) | instid1(VALU_DEP_1)
	v_fmac_f64_e32 v[32:33], v[32:33], v[34:35]
	v_mul_f64_e32 v[34:35], v[36:37], v[32:33]
	s_delay_alu instid0(VALU_DEP_1) | instskip(SKIP_2) | instid1(VALU_DEP_3)
	v_fma_f64 v[30:31], -v[30:31], v[34:35], v[36:37]
	v_mul_f64_e32 v[36:37], v[8:9], v[12:13]
	v_mul_f64_e64 v[12:13], v[12:13], -v[6:7]
	v_div_fmas_f64 v[30:31], v[30:31], v[32:33], v[34:35]
	s_delay_alu instid0(VALU_DEP_3) | instskip(NEXT) | instid1(VALU_DEP_3)
	v_fmac_f64_e32 v[36:37], v[6:7], v[10:11]
	v_fmac_f64_e32 v[12:13], v[8:9], v[10:11]
	v_add_nc_u32_e32 v10, v25, v26
	s_delay_alu instid0(VALU_DEP_4) | instskip(NEXT) | instid1(VALU_DEP_1)
	v_div_fixup_f64 v[28:29], v[30:31], v[28:29], 1.0
	v_mul_f64_e32 v[6:7], v[36:37], v[28:29]
	s_delay_alu instid0(VALU_DEP_4)
	v_mul_f64_e32 v[8:9], v[12:13], v[28:29]
	global_store_b128 v[20:21], v[6:9], off
	s_wait_xcnt 0x0
	v_cmpx_lt_i32_e64 v10, v1
	s_cbranch_execz .LBB44_35
; %bb.41:                               ;   in Loop: Header=BB44_37 Depth=1
	s_mov_b32 s23, 0
	s_branch .LBB44_43
.LBB44_42:                              ;   in Loop: Header=BB44_43 Depth=2
	s_wait_xcnt 0x0
	s_or_b32 exec_lo, exec_lo, s24
	v_add_nc_u32_e32 v10, 32, v10
	s_delay_alu instid0(VALU_DEP_1) | instskip(SKIP_1) | instid1(SALU_CYCLE_1)
	v_cmp_ge_i32_e32 vcc_lo, v10, v1
	s_or_b32 s23, vcc_lo, s23
	s_and_not1_b32 exec_lo, exec_lo, s23
	s_cbranch_execz .LBB44_35
.LBB44_43:                              ;   Parent Loop BB44_37 Depth=1
                                        ; =>  This Loop Header: Depth=2
                                        ;       Child Loop BB44_52 Depth 3
	global_load_b32 v12, v10, s[6:7] scale_offset
	v_ashrrev_i32_e32 v11, 31, v10
	v_mov_b32_e32 v13, 0x200
	s_mov_b32 s24, 0
                                        ; implicit-def: $sgpr25
                                        ; implicit-def: $sgpr26
                                        ; implicit-def: $sgpr27
	s_wait_loadcnt 0x0
	v_mul_lo_u32 v21, 0x67, v12
	s_branch .LBB44_52
.LBB44_44:                              ;   in Loop: Header=BB44_52 Depth=3
	s_or_b32 exec_lo, exec_lo, s39
	s_delay_alu instid0(SALU_CYCLE_1)
	s_or_not1_b32 s37, s37, exec_lo
	s_or_not1_b32 s38, s38, exec_lo
.LBB44_45:                              ;   in Loop: Header=BB44_52 Depth=3
	s_or_b32 exec_lo, exec_lo, s36
	s_delay_alu instid0(SALU_CYCLE_1)
	s_and_b32 s37, s37, exec_lo
	s_or_not1_b32 s36, s38, exec_lo
.LBB44_46:                              ;   in Loop: Header=BB44_52 Depth=3
	s_or_b32 exec_lo, exec_lo, s35
	s_delay_alu instid0(SALU_CYCLE_1)
	s_or_not1_b32 s35, s37, exec_lo
	s_or_not1_b32 s36, s36, exec_lo
.LBB44_47:                              ;   in Loop: Header=BB44_52 Depth=3
	s_or_b32 exec_lo, exec_lo, s34
	s_delay_alu instid0(SALU_CYCLE_1)
	s_and_b32 s35, s35, exec_lo
	s_or_not1_b32 s34, s36, exec_lo
.LBB44_48:                              ;   in Loop: Header=BB44_52 Depth=3
	s_or_b32 exec_lo, exec_lo, s33
	s_delay_alu instid0(SALU_CYCLE_1)
	s_or_not1_b32 s33, s35, exec_lo
	s_or_not1_b32 s34, s34, exec_lo
.LBB44_49:                              ;   in Loop: Header=BB44_52 Depth=3
	s_or_b32 exec_lo, exec_lo, s31
	s_delay_alu instid0(SALU_CYCLE_1)
	s_and_b32 s33, s33, exec_lo
	s_or_not1_b32 s31, s34, exec_lo
.LBB44_50:                              ;   in Loop: Header=BB44_52 Depth=3
	s_or_b32 exec_lo, exec_lo, s30
	s_delay_alu instid0(SALU_CYCLE_1)
	s_and_not1_b32 s27, s27, exec_lo
	s_and_b32 s30, s33, exec_lo
	s_and_not1_b32 s26, s26, exec_lo
	s_and_b32 s31, s31, exec_lo
	s_or_b32 s27, s27, s30
	s_or_b32 s26, s26, s31
.LBB44_51:                              ;   in Loop: Header=BB44_52 Depth=3
	s_or_b32 exec_lo, exec_lo, s29
	s_delay_alu instid0(SALU_CYCLE_1) | instskip(NEXT) | instid1(SALU_CYCLE_1)
	s_and_b32 s29, exec_lo, s26
	s_or_b32 s24, s29, s24
	s_and_not1_b32 s25, s25, exec_lo
	s_and_b32 s29, s27, exec_lo
	s_delay_alu instid0(SALU_CYCLE_1)
	s_or_b32 s25, s25, s29
	s_and_not1_b32 exec_lo, exec_lo, s24
	s_cbranch_execz .LBB44_61
.LBB44_52:                              ;   Parent Loop BB44_37 Depth=1
                                        ;     Parent Loop BB44_43 Depth=2
                                        ; =>    This Inner Loop Header: Depth=3
	s_delay_alu instid0(VALU_DEP_1) | instskip(SKIP_3) | instid1(VALU_DEP_1)
	v_and_b32_e32 v20, 0x1ff, v21
	s_or_b32 s27, s27, exec_lo
	s_or_b32 s26, s26, exec_lo
	s_mov_b32 s29, exec_lo
	v_lshl_add_u32 v26, v20, 2, v24
	ds_load_b32 v26, v26
	s_wait_dscnt 0x0
	s_wait_xcnt 0x0
	v_cmpx_ne_u32_e32 -1, v26
	s_cbranch_execz .LBB44_51
; %bb.53:                               ;   in Loop: Header=BB44_52 Depth=3
	s_mov_b32 s31, -1
	s_mov_b32 s33, 0
	s_mov_b32 s30, exec_lo
	v_cmpx_ne_u32_e64 v26, v12
	s_cbranch_execz .LBB44_50
; %bb.54:                               ;   in Loop: Header=BB44_52 Depth=3
	v_add_nc_u32_e32 v20, 1, v21
	s_mov_b32 s34, -1
	s_mov_b32 s33, -1
	s_mov_b32 s31, exec_lo
	s_delay_alu instid0(VALU_DEP_1) | instskip(NEXT) | instid1(VALU_DEP_1)
	v_and_b32_e32 v20, 0x1ff, v20
	v_lshl_add_u32 v26, v20, 2, v24
	ds_load_b32 v26, v26
	s_wait_dscnt 0x0
	v_cmpx_ne_u32_e32 -1, v26
	s_cbranch_execz .LBB44_49
; %bb.55:                               ;   in Loop: Header=BB44_52 Depth=3
	s_mov_b32 s35, 0
	s_mov_b32 s33, exec_lo
	v_cmpx_ne_u32_e64 v26, v12
	s_cbranch_execz .LBB44_48
; %bb.56:                               ;   in Loop: Header=BB44_52 Depth=3
	v_add_nc_u32_e32 v20, 2, v21
	s_mov_b32 s36, -1
	s_mov_b32 s35, -1
	s_mov_b32 s34, exec_lo
	s_delay_alu instid0(VALU_DEP_1) | instskip(NEXT) | instid1(VALU_DEP_1)
	v_and_b32_e32 v20, 0x1ff, v20
	v_lshl_add_u32 v26, v20, 2, v24
	ds_load_b32 v26, v26
	s_wait_dscnt 0x0
	v_cmpx_ne_u32_e32 -1, v26
	s_cbranch_execz .LBB44_47
; %bb.57:                               ;   in Loop: Header=BB44_52 Depth=3
	s_mov_b32 s37, 0
	s_mov_b32 s35, exec_lo
	v_cmpx_ne_u32_e64 v26, v12
	s_cbranch_execz .LBB44_46
; %bb.58:                               ;   in Loop: Header=BB44_52 Depth=3
	v_add_nc_u32_e32 v20, 3, v21
	s_mov_b32 s38, -1
	s_mov_b32 s37, -1
	s_mov_b32 s36, exec_lo
	s_delay_alu instid0(VALU_DEP_1) | instskip(NEXT) | instid1(VALU_DEP_1)
	v_and_b32_e32 v20, 0x1ff, v20
	v_lshl_add_u32 v21, v20, 2, v24
	ds_load_b32 v26, v21
                                        ; implicit-def: $vgpr21
	s_wait_dscnt 0x0
	v_cmpx_ne_u32_e32 -1, v26
	s_cbranch_execz .LBB44_45
; %bb.59:                               ;   in Loop: Header=BB44_52 Depth=3
	s_mov_b32 s37, 0
	s_mov_b32 s39, exec_lo
                                        ; implicit-def: $vgpr21
	v_cmpx_ne_u32_e64 v26, v12
	s_cbranch_execz .LBB44_44
; %bb.60:                               ;   in Loop: Header=BB44_52 Depth=3
	v_dual_add_nc_u32 v13, -4, v13 :: v_dual_add_nc_u32 v21, 1, v20
	s_mov_b32 s37, exec_lo
	s_delay_alu instid0(VALU_DEP_1)
	v_cmp_eq_u32_e32 vcc_lo, 0, v13
	s_or_not1_b32 s38, vcc_lo, exec_lo
	s_branch .LBB44_44
.LBB44_61:                              ;   in Loop: Header=BB44_43 Depth=2
	s_or_b32 exec_lo, exec_lo, s24
	s_xor_b32 s24, s25, -1
	s_delay_alu instid0(SALU_CYCLE_1) | instskip(NEXT) | instid1(SALU_CYCLE_1)
	s_and_saveexec_b32 s25, s24
	s_xor_b32 s24, exec_lo, s25
	s_cbranch_execz .LBB44_42
; %bb.62:                               ;   in Loop: Header=BB44_43 Depth=2
	v_lshl_add_u32 v12, v20, 2, v23
	ds_load_b32 v20, v12
	v_lshl_add_u64 v[12:13], v[10:11], 4, s[8:9]
	global_load_b128 v[26:29], v[12:13], off
	s_wait_dscnt 0x0
	global_load_b128 v[30:33], v20, s[8:9] scale_offset
	s_wait_loadcnt 0x0
	v_fma_f64 v[30:31], -v[6:7], v[26:27], v[30:31]
	s_wait_xcnt 0x1
	v_fma_f64 v[12:13], -v[8:9], v[26:27], v[32:33]
	s_delay_alu instid0(VALU_DEP_2) | instskip(NEXT) | instid1(VALU_DEP_2)
	v_fmac_f64_e32 v[30:31], v[8:9], v[28:29]
	v_fma_f64 v[32:33], -v[6:7], v[28:29], v[12:13]
	global_store_b128 v20, v[30:33], s[8:9] scale_offset
	s_branch .LBB44_42
.LBB44_63:
	s_or_b32 exec_lo, exec_lo, s14
	s_delay_alu instid0(SALU_CYCLE_1)
	s_mov_b32 s4, exec_lo
	s_wait_storecnt 0x0
	v_cmpx_lt_i32_e32 -1, v18
	s_cbranch_execz .LBB44_85
; %bb.64:
	global_load_b128 v[6:9], v18, s[8:9] scale_offset
	s_mov_b32 s2, exec_lo
                                        ; implicit-def: $vgpr12_vgpr13
	s_wait_loadcnt 0x0
	v_cmp_gt_f64_e32 vcc_lo, 0, v[6:7]
	v_xor_b32_e32 v1, 0x80000000, v7
	v_mov_b32_e32 v0, v6
	v_xor_b32_e32 v10, 0x80000000, v9
	s_delay_alu instid0(VALU_DEP_3) | instskip(SKIP_1) | instid1(VALU_DEP_3)
	v_cndmask_b32_e32 v1, v7, v1, vcc_lo
	v_cmp_gt_f64_e32 vcc_lo, 0, v[8:9]
	v_dual_cndmask_b32 v11, v9, v10 :: v_dual_mov_b32 v10, v8
	s_delay_alu instid0(VALU_DEP_1)
	v_cmpx_ngt_f64_e32 v[0:1], v[10:11]
	s_xor_b32 s2, exec_lo, s2
	s_cbranch_execz .LBB44_68
; %bb.65:
	v_mov_b64_e32 v[12:13], 0
	s_mov_b32 s5, exec_lo
	v_cmpx_neq_f64_e32 0, v[8:9]
	s_cbranch_execz .LBB44_67
; %bb.66:
	v_div_scale_f64 v[12:13], null, v[10:11], v[10:11], v[0:1]
	v_div_scale_f64 v[26:27], vcc_lo, v[0:1], v[10:11], v[0:1]
	s_delay_alu instid0(VALU_DEP_2) | instskip(SKIP_1) | instid1(TRANS32_DEP_1)
	v_rcp_f64_e32 v[20:21], v[12:13]
	v_nop
	v_fma_f64 v[24:25], -v[12:13], v[20:21], 1.0
	s_delay_alu instid0(VALU_DEP_1) | instskip(NEXT) | instid1(VALU_DEP_1)
	v_fmac_f64_e32 v[20:21], v[20:21], v[24:25]
	v_fma_f64 v[24:25], -v[12:13], v[20:21], 1.0
	s_delay_alu instid0(VALU_DEP_1) | instskip(NEXT) | instid1(VALU_DEP_1)
	v_fmac_f64_e32 v[20:21], v[20:21], v[24:25]
	v_mul_f64_e32 v[24:25], v[26:27], v[20:21]
	s_delay_alu instid0(VALU_DEP_1) | instskip(NEXT) | instid1(VALU_DEP_1)
	v_fma_f64 v[12:13], -v[12:13], v[24:25], v[26:27]
	v_div_fmas_f64 v[12:13], v[12:13], v[20:21], v[24:25]
	s_delay_alu instid0(VALU_DEP_1) | instskip(NEXT) | instid1(VALU_DEP_1)
	v_div_fixup_f64 v[0:1], v[12:13], v[10:11], v[0:1]
	v_fma_f64 v[0:1], v[0:1], v[0:1], 1.0
	s_delay_alu instid0(VALU_DEP_1) | instskip(SKIP_1) | instid1(VALU_DEP_1)
	v_cmp_gt_f64_e32 vcc_lo, 0x10000000, v[0:1]
	v_cndmask_b32_e64 v12, 0, 0x100, vcc_lo
	v_ldexp_f64 v[0:1], v[0:1], v12
	s_delay_alu instid0(VALU_DEP_1) | instskip(SKIP_1) | instid1(TRANS32_DEP_1)
	v_rsq_f64_e32 v[12:13], v[0:1]
	v_nop
	v_mul_f64_e32 v[20:21], v[0:1], v[12:13]
	v_mul_f64_e32 v[12:13], 0.5, v[12:13]
	s_delay_alu instid0(VALU_DEP_1) | instskip(NEXT) | instid1(VALU_DEP_1)
	v_fma_f64 v[24:25], -v[12:13], v[20:21], 0.5
	v_fmac_f64_e32 v[20:21], v[20:21], v[24:25]
	v_fmac_f64_e32 v[12:13], v[12:13], v[24:25]
	s_delay_alu instid0(VALU_DEP_2) | instskip(NEXT) | instid1(VALU_DEP_1)
	v_fma_f64 v[24:25], -v[20:21], v[20:21], v[0:1]
	v_fmac_f64_e32 v[20:21], v[24:25], v[12:13]
	s_delay_alu instid0(VALU_DEP_1) | instskip(NEXT) | instid1(VALU_DEP_1)
	v_fma_f64 v[24:25], -v[20:21], v[20:21], v[0:1]
	v_fmac_f64_e32 v[20:21], v[24:25], v[12:13]
	v_cndmask_b32_e64 v12, 0, 0xffffff80, vcc_lo
	v_cmp_class_f64_e64 vcc_lo, v[0:1], 0x260
	s_delay_alu instid0(VALU_DEP_2) | instskip(NEXT) | instid1(VALU_DEP_1)
	v_ldexp_f64 v[12:13], v[20:21], v12
	v_dual_cndmask_b32 v1, v13, v1 :: v_dual_cndmask_b32 v0, v12, v0
	s_delay_alu instid0(VALU_DEP_1)
	v_mul_f64_e32 v[12:13], v[10:11], v[0:1]
.LBB44_67:
	s_or_b32 exec_lo, exec_lo, s5
                                        ; implicit-def: $vgpr0_vgpr1
                                        ; implicit-def: $vgpr10_vgpr11
.LBB44_68:
	s_and_not1_saveexec_b32 s2, s2
	s_cbranch_execz .LBB44_70
; %bb.69:
	v_div_scale_f64 v[12:13], null, v[0:1], v[0:1], v[10:11]
	v_div_scale_f64 v[26:27], vcc_lo, v[10:11], v[0:1], v[10:11]
	s_delay_alu instid0(VALU_DEP_2) | instskip(SKIP_1) | instid1(TRANS32_DEP_1)
	v_rcp_f64_e32 v[20:21], v[12:13]
	v_nop
	v_fma_f64 v[24:25], -v[12:13], v[20:21], 1.0
	s_delay_alu instid0(VALU_DEP_1) | instskip(NEXT) | instid1(VALU_DEP_1)
	v_fmac_f64_e32 v[20:21], v[20:21], v[24:25]
	v_fma_f64 v[24:25], -v[12:13], v[20:21], 1.0
	s_delay_alu instid0(VALU_DEP_1) | instskip(NEXT) | instid1(VALU_DEP_1)
	v_fmac_f64_e32 v[20:21], v[20:21], v[24:25]
	v_mul_f64_e32 v[24:25], v[26:27], v[20:21]
	s_delay_alu instid0(VALU_DEP_1) | instskip(NEXT) | instid1(VALU_DEP_1)
	v_fma_f64 v[12:13], -v[12:13], v[24:25], v[26:27]
	v_div_fmas_f64 v[12:13], v[12:13], v[20:21], v[24:25]
	s_delay_alu instid0(VALU_DEP_1) | instskip(NEXT) | instid1(VALU_DEP_1)
	v_div_fixup_f64 v[10:11], v[12:13], v[0:1], v[10:11]
	v_fma_f64 v[10:11], v[10:11], v[10:11], 1.0
	s_delay_alu instid0(VALU_DEP_1) | instskip(SKIP_1) | instid1(VALU_DEP_1)
	v_cmp_gt_f64_e32 vcc_lo, 0x10000000, v[10:11]
	v_cndmask_b32_e64 v12, 0, 0x100, vcc_lo
	v_ldexp_f64 v[10:11], v[10:11], v12
	s_delay_alu instid0(VALU_DEP_1) | instskip(SKIP_1) | instid1(TRANS32_DEP_1)
	v_rsq_f64_e32 v[12:13], v[10:11]
	v_nop
	v_mul_f64_e32 v[20:21], v[10:11], v[12:13]
	v_mul_f64_e32 v[12:13], 0.5, v[12:13]
	s_delay_alu instid0(VALU_DEP_1) | instskip(NEXT) | instid1(VALU_DEP_1)
	v_fma_f64 v[24:25], -v[12:13], v[20:21], 0.5
	v_fmac_f64_e32 v[20:21], v[20:21], v[24:25]
	v_fmac_f64_e32 v[12:13], v[12:13], v[24:25]
	s_delay_alu instid0(VALU_DEP_2) | instskip(NEXT) | instid1(VALU_DEP_1)
	v_fma_f64 v[24:25], -v[20:21], v[20:21], v[10:11]
	v_fmac_f64_e32 v[20:21], v[24:25], v[12:13]
	s_delay_alu instid0(VALU_DEP_1) | instskip(NEXT) | instid1(VALU_DEP_1)
	v_fma_f64 v[24:25], -v[20:21], v[20:21], v[10:11]
	v_fmac_f64_e32 v[20:21], v[24:25], v[12:13]
	v_cndmask_b32_e64 v12, 0, 0xffffff80, vcc_lo
	v_cmp_class_f64_e64 vcc_lo, v[10:11], 0x260
	s_delay_alu instid0(VALU_DEP_2) | instskip(NEXT) | instid1(VALU_DEP_1)
	v_ldexp_f64 v[12:13], v[20:21], v12
	v_dual_cndmask_b32 v11, v13, v11 :: v_dual_cndmask_b32 v10, v12, v10
	s_delay_alu instid0(VALU_DEP_1)
	v_mul_f64_e32 v[12:13], v[0:1], v[10:11]
.LBB44_70:
	s_or_b32 exec_lo, exec_lo, s2
	v_cmp_ne_u32_e32 vcc_lo, 1, v19
	v_cmp_eq_u32_e64 s2, 0, v22
	s_mov_b32 s5, -1
	s_cbranch_vccnz .LBB44_74
; %bb.71:
	v_cvt_f64_f32_e32 v[0:1], s3
	s_cmp_eq_u64 s[20:21], 8
	s_cselect_b32 vcc_lo, -1, 0
	s_delay_alu instid0(VALU_DEP_1) | instskip(NEXT) | instid1(VALU_DEP_1)
	v_dual_cndmask_b32 v1, v1, v17 :: v_dual_cndmask_b32 v0, v0, v16
	v_cmp_le_f64_e32 vcc_lo, v[12:13], v[0:1]
	s_and_b32 s5, s2, vcc_lo
	s_delay_alu instid0(SALU_CYCLE_1)
	s_and_saveexec_b32 s3, s5
	s_cbranch_execz .LBB44_73
; %bb.72:
	v_mov_b32_e32 v19, 0
	s_delay_alu instid0(VALU_DEP_1)
	v_lshl_add_u64 v[0:1], v[18:19], 4, s[8:9]
	global_store_b128 v[0:1], v[2:5], off
	global_wb scope:SCOPE_DEV
	s_wait_storecnt 0x0
	global_inv scope:SCOPE_DEV
.LBB44_73:
	s_wait_xcnt 0x0
	s_or_b32 exec_lo, exec_lo, s3
	s_mov_b32 s5, 0
.LBB44_74:
	s_delay_alu instid0(SALU_CYCLE_1)
	s_and_not1_b32 vcc_lo, exec_lo, s5
	s_cbranch_vccnz .LBB44_85
; %bb.75:
	s_load_b64 s[0:1], s[0:1], 0x48
	v_add_nc_u32_e32 v0, s28, v14
	s_wait_kmcnt 0x0
	v_cmp_ge_f64_e32 vcc_lo, s[0:1], v[12:13]
	s_and_b32 s1, s2, vcc_lo
	s_delay_alu instid0(SALU_CYCLE_1)
	s_and_saveexec_b32 s0, s1
	s_cbranch_execz .LBB44_80
; %bb.76:
	s_mov_b32 s3, exec_lo
	s_brev_b32 s1, -2
.LBB44_77:                              ; =>This Inner Loop Header: Depth=1
	s_ctz_i32_b32 s5, s3
	s_delay_alu instid0(SALU_CYCLE_1) | instskip(SKIP_1) | instid1(SALU_CYCLE_1)
	v_readlane_b32 s6, v0, s5
	s_lshl_b32 s5, 1, s5
	s_and_not1_b32 s3, s3, s5
	s_min_i32 s1, s1, s6
	s_cmp_lg_u32 s3, 0
	s_cbranch_scc1 .LBB44_77
; %bb.78:
	v_mbcnt_lo_u32_b32 v1, exec_lo, 0
	s_mov_b32 s3, exec_lo
	s_delay_alu instid0(VALU_DEP_1)
	v_cmpx_eq_u32_e32 0, v1
	s_xor_b32 s3, exec_lo, s3
	s_cbranch_execz .LBB44_80
; %bb.79:
	v_dual_mov_b32 v1, 0 :: v_dual_mov_b32 v2, s1
	global_atomic_min_i32 v1, v2, s[18:19] scope:SCOPE_DEV
.LBB44_80:
	s_wait_xcnt 0x0
	s_or_b32 exec_lo, exec_lo, s0
	v_cmp_eq_f64_e32 vcc_lo, 0, v[6:7]
	v_cmp_eq_f64_e64 s0, 0, v[8:9]
	s_and_b32 s0, vcc_lo, s0
	s_delay_alu instid0(SALU_CYCLE_1) | instskip(NEXT) | instid1(SALU_CYCLE_1)
	s_and_b32 s0, s2, s0
	s_and_b32 exec_lo, exec_lo, s0
	s_cbranch_execz .LBB44_85
; %bb.81:
	s_mov_b32 s1, exec_lo
	s_brev_b32 s0, -2
.LBB44_82:                              ; =>This Inner Loop Header: Depth=1
	s_ctz_i32_b32 s2, s1
	s_delay_alu instid0(SALU_CYCLE_1) | instskip(SKIP_1) | instid1(SALU_CYCLE_1)
	v_readlane_b32 s3, v0, s2
	s_lshl_b32 s2, 1, s2
	s_and_not1_b32 s1, s1, s2
	s_min_i32 s0, s0, s3
	s_cmp_lg_u32 s1, 0
	s_cbranch_scc1 .LBB44_82
; %bb.83:
	v_mbcnt_lo_u32_b32 v0, exec_lo, 0
	s_mov_b32 s1, exec_lo
	s_delay_alu instid0(VALU_DEP_1)
	v_cmpx_eq_u32_e32 0, v0
	s_xor_b32 s1, exec_lo, s1
	s_cbranch_execz .LBB44_85
; %bb.84:
	v_dual_mov_b32 v0, 0 :: v_dual_mov_b32 v1, s0
	global_atomic_min_i32 v0, v1, s[16:17] scope:SCOPE_DEV
.LBB44_85:
	s_wait_xcnt 0x0
	s_or_b32 exec_lo, exec_lo, s4
	v_cmp_eq_u32_e32 vcc_lo, 0, v22
	global_wb scope:SCOPE_DEV
	s_wait_loadcnt 0x0
	s_wait_storecnt 0x0
	global_inv scope:SCOPE_DEV
	s_and_b32 exec_lo, exec_lo, vcc_lo
	s_cbranch_execz .LBB44_87
; %bb.86:
	v_lshl_add_u64 v[0:1], v[14:15], 2, s[12:13]
	v_mov_b32_e32 v2, 1
	global_wb scope:SCOPE_DEV
	s_wait_loadcnt 0x0
	s_wait_storecnt 0x0
	global_store_b32 v[0:1], v2, off scope:SCOPE_DEV
.LBB44_87:
	s_endpgm
	.section	.rodata,"a",@progbits
	.p2align	6, 0x0
	.amdhsa_kernel _ZN9rocsparseL12csrilu0_hashILj256ELj32ELj16E21rocsparse_complex_numIdEEEviPKiS4_PT2_S4_PiS4_S7_S7_d21rocsparse_index_base_imNS_24const_host_device_scalarIfEENS9_IdEENS9_IS5_EEb
		.amdhsa_group_segment_fixed_size 32768
		.amdhsa_private_segment_fixed_size 16
		.amdhsa_kernarg_size 132
		.amdhsa_user_sgpr_count 2
		.amdhsa_user_sgpr_dispatch_ptr 0
		.amdhsa_user_sgpr_queue_ptr 0
		.amdhsa_user_sgpr_kernarg_segment_ptr 1
		.amdhsa_user_sgpr_dispatch_id 0
		.amdhsa_user_sgpr_kernarg_preload_length 0
		.amdhsa_user_sgpr_kernarg_preload_offset 0
		.amdhsa_user_sgpr_private_segment_size 0
		.amdhsa_wavefront_size32 1
		.amdhsa_uses_dynamic_stack 0
		.amdhsa_enable_private_segment 1
		.amdhsa_system_sgpr_workgroup_id_x 1
		.amdhsa_system_sgpr_workgroup_id_y 0
		.amdhsa_system_sgpr_workgroup_id_z 0
		.amdhsa_system_sgpr_workgroup_info 0
		.amdhsa_system_vgpr_workitem_id 0
		.amdhsa_next_free_vgpr 38
		.amdhsa_next_free_sgpr 40
		.amdhsa_named_barrier_count 0
		.amdhsa_reserve_vcc 1
		.amdhsa_float_round_mode_32 0
		.amdhsa_float_round_mode_16_64 0
		.amdhsa_float_denorm_mode_32 3
		.amdhsa_float_denorm_mode_16_64 3
		.amdhsa_fp16_overflow 0
		.amdhsa_memory_ordered 1
		.amdhsa_forward_progress 1
		.amdhsa_inst_pref_size 29
		.amdhsa_round_robin_scheduling 0
		.amdhsa_exception_fp_ieee_invalid_op 0
		.amdhsa_exception_fp_denorm_src 0
		.amdhsa_exception_fp_ieee_div_zero 0
		.amdhsa_exception_fp_ieee_overflow 0
		.amdhsa_exception_fp_ieee_underflow 0
		.amdhsa_exception_fp_ieee_inexact 0
		.amdhsa_exception_int_div_zero 0
	.end_amdhsa_kernel
	.section	.text._ZN9rocsparseL12csrilu0_hashILj256ELj32ELj16E21rocsparse_complex_numIdEEEviPKiS4_PT2_S4_PiS4_S7_S7_d21rocsparse_index_base_imNS_24const_host_device_scalarIfEENS9_IdEENS9_IS5_EEb,"axG",@progbits,_ZN9rocsparseL12csrilu0_hashILj256ELj32ELj16E21rocsparse_complex_numIdEEEviPKiS4_PT2_S4_PiS4_S7_S7_d21rocsparse_index_base_imNS_24const_host_device_scalarIfEENS9_IdEENS9_IS5_EEb,comdat
.Lfunc_end44:
	.size	_ZN9rocsparseL12csrilu0_hashILj256ELj32ELj16E21rocsparse_complex_numIdEEEviPKiS4_PT2_S4_PiS4_S7_S7_d21rocsparse_index_base_imNS_24const_host_device_scalarIfEENS9_IdEENS9_IS5_EEb, .Lfunc_end44-_ZN9rocsparseL12csrilu0_hashILj256ELj32ELj16E21rocsparse_complex_numIdEEEviPKiS4_PT2_S4_PiS4_S7_S7_d21rocsparse_index_base_imNS_24const_host_device_scalarIfEENS9_IdEENS9_IS5_EEb
                                        ; -- End function
	.set _ZN9rocsparseL12csrilu0_hashILj256ELj32ELj16E21rocsparse_complex_numIdEEEviPKiS4_PT2_S4_PiS4_S7_S7_d21rocsparse_index_base_imNS_24const_host_device_scalarIfEENS9_IdEENS9_IS5_EEb.num_vgpr, 38
	.set _ZN9rocsparseL12csrilu0_hashILj256ELj32ELj16E21rocsparse_complex_numIdEEEviPKiS4_PT2_S4_PiS4_S7_S7_d21rocsparse_index_base_imNS_24const_host_device_scalarIfEENS9_IdEENS9_IS5_EEb.num_agpr, 0
	.set _ZN9rocsparseL12csrilu0_hashILj256ELj32ELj16E21rocsparse_complex_numIdEEEviPKiS4_PT2_S4_PiS4_S7_S7_d21rocsparse_index_base_imNS_24const_host_device_scalarIfEENS9_IdEENS9_IS5_EEb.numbered_sgpr, 40
	.set _ZN9rocsparseL12csrilu0_hashILj256ELj32ELj16E21rocsparse_complex_numIdEEEviPKiS4_PT2_S4_PiS4_S7_S7_d21rocsparse_index_base_imNS_24const_host_device_scalarIfEENS9_IdEENS9_IS5_EEb.num_named_barrier, 0
	.set _ZN9rocsparseL12csrilu0_hashILj256ELj32ELj16E21rocsparse_complex_numIdEEEviPKiS4_PT2_S4_PiS4_S7_S7_d21rocsparse_index_base_imNS_24const_host_device_scalarIfEENS9_IdEENS9_IS5_EEb.private_seg_size, 16
	.set _ZN9rocsparseL12csrilu0_hashILj256ELj32ELj16E21rocsparse_complex_numIdEEEviPKiS4_PT2_S4_PiS4_S7_S7_d21rocsparse_index_base_imNS_24const_host_device_scalarIfEENS9_IdEENS9_IS5_EEb.uses_vcc, 1
	.set _ZN9rocsparseL12csrilu0_hashILj256ELj32ELj16E21rocsparse_complex_numIdEEEviPKiS4_PT2_S4_PiS4_S7_S7_d21rocsparse_index_base_imNS_24const_host_device_scalarIfEENS9_IdEENS9_IS5_EEb.uses_flat_scratch, 0
	.set _ZN9rocsparseL12csrilu0_hashILj256ELj32ELj16E21rocsparse_complex_numIdEEEviPKiS4_PT2_S4_PiS4_S7_S7_d21rocsparse_index_base_imNS_24const_host_device_scalarIfEENS9_IdEENS9_IS5_EEb.has_dyn_sized_stack, 0
	.set _ZN9rocsparseL12csrilu0_hashILj256ELj32ELj16E21rocsparse_complex_numIdEEEviPKiS4_PT2_S4_PiS4_S7_S7_d21rocsparse_index_base_imNS_24const_host_device_scalarIfEENS9_IdEENS9_IS5_EEb.has_recursion, 0
	.set _ZN9rocsparseL12csrilu0_hashILj256ELj32ELj16E21rocsparse_complex_numIdEEEviPKiS4_PT2_S4_PiS4_S7_S7_d21rocsparse_index_base_imNS_24const_host_device_scalarIfEENS9_IdEENS9_IS5_EEb.has_indirect_call, 0
	.section	.AMDGPU.csdata,"",@progbits
; Kernel info:
; codeLenInByte = 3664
; TotalNumSgprs: 42
; NumVgprs: 38
; ScratchSize: 16
; MemoryBound: 0
; FloatMode: 240
; IeeeMode: 1
; LDSByteSize: 32768 bytes/workgroup (compile time only)
; SGPRBlocks: 0
; VGPRBlocks: 2
; NumSGPRsForWavesPerEU: 42
; NumVGPRsForWavesPerEU: 38
; NamedBarCnt: 0
; Occupancy: 16
; WaveLimiterHint : 1
; COMPUTE_PGM_RSRC2:SCRATCH_EN: 1
; COMPUTE_PGM_RSRC2:USER_SGPR: 2
; COMPUTE_PGM_RSRC2:TRAP_HANDLER: 0
; COMPUTE_PGM_RSRC2:TGID_X_EN: 1
; COMPUTE_PGM_RSRC2:TGID_Y_EN: 0
; COMPUTE_PGM_RSRC2:TGID_Z_EN: 0
; COMPUTE_PGM_RSRC2:TIDIG_COMP_CNT: 0
	.section	.text._ZN9rocsparseL17csrilu0_binsearchILj256ELj32ELb0E21rocsparse_complex_numIdEEEviPKiS4_PT2_S4_PiS4_S7_S7_d21rocsparse_index_base_imNS_24const_host_device_scalarIfEENS9_IdEENS9_IS5_EEb,"axG",@progbits,_ZN9rocsparseL17csrilu0_binsearchILj256ELj32ELb0E21rocsparse_complex_numIdEEEviPKiS4_PT2_S4_PiS4_S7_S7_d21rocsparse_index_base_imNS_24const_host_device_scalarIfEENS9_IdEENS9_IS5_EEb,comdat
	.globl	_ZN9rocsparseL17csrilu0_binsearchILj256ELj32ELb0E21rocsparse_complex_numIdEEEviPKiS4_PT2_S4_PiS4_S7_S7_d21rocsparse_index_base_imNS_24const_host_device_scalarIfEENS9_IdEENS9_IS5_EEb ; -- Begin function _ZN9rocsparseL17csrilu0_binsearchILj256ELj32ELb0E21rocsparse_complex_numIdEEEviPKiS4_PT2_S4_PiS4_S7_S7_d21rocsparse_index_base_imNS_24const_host_device_scalarIfEENS9_IdEENS9_IS5_EEb
	.p2align	8
	.type	_ZN9rocsparseL17csrilu0_binsearchILj256ELj32ELb0E21rocsparse_complex_numIdEEEviPKiS4_PT2_S4_PiS4_S7_S7_d21rocsparse_index_base_imNS_24const_host_device_scalarIfEENS9_IdEENS9_IS5_EEb,@function
_ZN9rocsparseL17csrilu0_binsearchILj256ELj32ELb0E21rocsparse_complex_numIdEEEviPKiS4_PT2_S4_PiS4_S7_S7_d21rocsparse_index_base_imNS_24const_host_device_scalarIfEENS9_IdEENS9_IS5_EEb: ; @_ZN9rocsparseL17csrilu0_binsearchILj256ELj32ELb0E21rocsparse_complex_numIdEEEviPKiS4_PT2_S4_PiS4_S7_S7_d21rocsparse_index_base_imNS_24const_host_device_scalarIfEENS9_IdEENS9_IS5_EEb
; %bb.0:
	s_clause 0x2
	s_load_b96 s[4:6], s[0:1], 0x78
	s_load_b64 s[28:29], s[0:1], 0x50
	s_load_b256 s[20:27], s[0:1], 0x58
	s_wait_kmcnt 0x0
	s_bitcmp1_b32 s6, 0
	s_cselect_b32 s2, -1, 0
	s_cmp_eq_u32 s29, 0
	v_mov_b64_e32 v[2:3], s[26:27]
	s_cselect_b32 s3, -1, 0
	s_cmp_lg_u32 s29, 0
	s_cselect_b32 s8, -1, 0
	s_or_b32 s10, s3, s2
	s_delay_alu instid0(SALU_CYCLE_1)
	s_xor_b32 s9, s10, -1
	s_and_b32 s3, s3, exec_lo
	s_cselect_b32 s7, 0, s25
	s_cselect_b32 s6, 0, s24
	;; [unrolled: 1-line block ×3, first 2 shown]
	s_and_b32 vcc_lo, exec_lo, s10
	scratch_store_b64 off, v[2:3], off
	s_cbranch_vccnz .LBB45_2
; %bb.1:
	s_load_b32 s3, s[22:23], 0x0
	s_mov_b64 s[6:7], s[24:25]
.LBB45_2:
	s_delay_alu instid0(SALU_CYCLE_1)
	v_mov_b64_e32 v[16:17], s[6:7]
	s_and_not1_b32 vcc_lo, exec_lo, s9
	s_cbranch_vccnz .LBB45_4
; %bb.3:
	v_mov_b32_e32 v1, 0
	flat_load_b64 v[16:17], v1, s[24:25]
.LBB45_4:
	s_wait_xcnt 0x0
	v_mov_b64_e32 v[2:3], 0
	v_mov_b64_e32 v[4:5], 0
	v_cndmask_b32_e64 v19, 0, 1, s8
	s_and_not1_b32 vcc_lo, exec_lo, s8
	s_cbranch_vccnz .LBB45_7
; %bb.5:
	v_mbcnt_lo_u32_b32 v1, -1, 0
	v_mov_b32_e32 v2, 0
	v_mov_b64_e32 v[4:5], s[4:5]
	s_delay_alu instid0(VALU_DEP_3) | instskip(NEXT) | instid1(VALU_DEP_1)
	v_lshlrev_b32_e32 v3, 20, v1
	v_add_nc_u64_e32 v[2:3], src_flat_scratch_base_lo, v[2:3]
	s_delay_alu instid0(VALU_DEP_1) | instskip(NEXT) | instid1(VALU_DEP_2)
	v_cndmask_b32_e64 v3, s27, v3, s2
	v_cndmask_b32_e64 v2, s26, v2, s2
	s_xor_b32 s2, s2, -1
	s_delay_alu instid0(SALU_CYCLE_1)
	s_and_not1_b32 vcc_lo, exec_lo, s2
	flat_load_b64 v[2:3], v[2:3]
	s_cbranch_vccnz .LBB45_7
; %bb.6:
	v_mov_b32_e32 v1, 0
	flat_load_b64 v[4:5], v1, s[26:27] offset:8
.LBB45_7:
	s_load_b32 s2, s[0:1], 0x0
	s_bfe_u32 s4, ttmp6, 0x4000c
	s_and_b32 s5, ttmp6, 15
	s_add_co_i32 s4, s4, 1
	s_getreg_b32 s6, hwreg(HW_REG_IB_STS2, 6, 4)
	s_mul_i32 s4, ttmp9, s4
	v_lshrrev_b32_e32 v1, 5, v0
	s_add_co_i32 s5, s5, s4
	s_cmp_eq_u32 s6, 0
	s_cselect_b32 s4, ttmp9, s5
	s_delay_alu instid0(SALU_CYCLE_1) | instskip(NEXT) | instid1(SALU_CYCLE_1)
	s_lshl_b32 s4, s4, 3
	v_and_or_b32 v1, 0x7fffff8, s4, v1
	s_wait_kmcnt 0x0
	s_delay_alu instid0(VALU_DEP_1)
	v_cmp_gt_i32_e32 vcc_lo, s2, v1
	s_and_saveexec_b32 s2, vcc_lo
	s_cbranch_execz .LBB45_49
; %bb.8:
	s_load_b512 s[4:19], s[0:1], 0x8
	s_wait_kmcnt 0x0
	global_load_b32 v14, v1, s[14:15] scale_offset
	v_and_b32_e32 v24, 31, v0
	s_wait_xcnt 0x0
	s_mov_b32 s14, exec_lo
	s_wait_loadcnt 0x0
	s_clause 0x1
	global_load_b32 v1, v14, s[4:5] scale_offset
	global_load_b32 v18, v14, s[10:11] scale_offset
	v_ashrrev_i32_e32 v15, 31, v14
	s_wait_loadcnt 0x1
	v_subrev_nc_u32_e32 v20, s28, v1
	s_wait_loadcnt 0x0
	s_delay_alu instid0(VALU_DEP_1)
	v_cmpx_lt_i32_e64 v20, v18
	s_cbranch_execz .LBB45_25
; %bb.9:
	v_lshl_add_u64 v[0:1], v[14:15], 2, s[4:5]
	v_add_nc_u32_e32 v25, 1, v24
	s_mov_b32 s15, 0
	global_load_b32 v0, v[0:1], off offset:4
	s_wait_loadcnt 0x0
	v_xad_u32 v26, s28, -1, v0
	s_branch .LBB45_12
.LBB45_10:                              ;   in Loop: Header=BB45_12 Depth=1
	s_or_b32 exec_lo, exec_lo, s22
	v_cmp_ge_i32_e32 vcc_lo, v20, v18
	s_or_not1_b32 s22, vcc_lo, exec_lo
.LBB45_11:                              ;   in Loop: Header=BB45_12 Depth=1
	s_or_b32 exec_lo, exec_lo, s2
	s_delay_alu instid0(SALU_CYCLE_1) | instskip(NEXT) | instid1(SALU_CYCLE_1)
	s_and_b32 s2, exec_lo, s22
	s_or_b32 s15, s2, s15
	s_delay_alu instid0(SALU_CYCLE_1)
	s_and_not1_b32 exec_lo, exec_lo, s15
	s_cbranch_execz .LBB45_25
.LBB45_12:                              ; =>This Loop Header: Depth=1
                                        ;     Child Loop BB45_14 Depth 2
                                        ;     Child Loop BB45_19 Depth 2
                                        ;       Child Loop BB45_21 Depth 3
	s_clause 0x1
	global_load_b32 v0, v20, s[6:7] scale_offset
	global_load_b128 v[6:9], v20, s[8:9] scale_offset
	s_mov_b32 s2, exec_lo
	s_wait_loadcnt 0x1
	v_subrev_nc_u32_e32 v0, s28, v0
	s_clause 0x2
	global_load_b32 v11, v0, s[4:5] offset:4 scale_offset
	global_load_b32 v10, v0, s[10:11] scale_offset
	global_load_b32 v1, v0, s[12:13] scale_offset scope:SCOPE_DEV
	s_wait_loadcnt 0x0
	s_wait_xcnt 0x0
	v_cmpx_eq_u32_e32 0, v1
	s_cbranch_execz .LBB45_15
; %bb.13:                               ;   in Loop: Header=BB45_12 Depth=1
	v_ashrrev_i32_e32 v1, 31, v0
	s_mov_b32 s22, 0
	s_delay_alu instid0(VALU_DEP_1)
	v_lshl_add_u64 v[0:1], v[0:1], 2, s[12:13]
.LBB45_14:                              ;   Parent Loop BB45_12 Depth=1
                                        ; =>  This Inner Loop Header: Depth=2
	global_load_b32 v12, v[0:1], off scope:SCOPE_DEV
	s_wait_loadcnt 0x0
	v_cmp_ne_u32_e32 vcc_lo, 0, v12
	s_or_b32 s22, vcc_lo, s22
	s_wait_xcnt 0x0
	s_and_not1_b32 exec_lo, exec_lo, s22
	s_cbranch_execnz .LBB45_14
.LBB45_15:                              ;   in Loop: Header=BB45_12 Depth=1
	s_or_b32 exec_lo, exec_lo, s2
	v_ashrrev_i32_e32 v21, 31, v20
	v_cmp_eq_u32_e32 vcc_lo, -1, v10
	s_wait_storecnt_dscnt 0x0
	global_inv scope:SCOPE_DEV
	s_mov_b32 s22, -1
	v_lshl_add_u64 v[22:23], v[20:21], 4, s[8:9]
	v_subrev_nc_u32_e32 v21, s28, v11
	s_delay_alu instid0(VALU_DEP_1) | instskip(NEXT) | instid1(VALU_DEP_1)
	v_add_nc_u32_e32 v0, -1, v21
	v_cndmask_b32_e32 v0, v10, v0, vcc_lo
	global_load_b128 v[10:13], v0, s[8:9] scale_offset
	s_wait_loadcnt 0x0
	v_cmp_neq_f64_e32 vcc_lo, 0, v[10:11]
	v_cmp_neq_f64_e64 s2, 0, v[12:13]
	s_or_b32 s2, vcc_lo, s2
	s_wait_xcnt 0x0
	s_and_saveexec_b32 s23, s2
	s_delay_alu instid0(SALU_CYCLE_1)
	s_xor_b32 s2, exec_lo, s23
	s_cbranch_execz .LBB45_11
; %bb.16:                               ;   in Loop: Header=BB45_12 Depth=1
	v_mul_f64_e32 v[28:29], v[12:13], v[12:13]
	s_mov_b32 s22, exec_lo
	v_add_nc_u32_e32 v0, v25, v0
	v_add_nc_u32_e32 v20, 1, v20
	s_delay_alu instid0(VALU_DEP_3) | instskip(NEXT) | instid1(VALU_DEP_1)
	v_fmac_f64_e32 v[28:29], v[10:11], v[10:11]
	v_div_scale_f64 v[30:31], null, v[28:29], v[28:29], 1.0
	v_div_scale_f64 v[36:37], vcc_lo, 1.0, v[28:29], 1.0
	s_delay_alu instid0(VALU_DEP_2) | instskip(SKIP_1) | instid1(TRANS32_DEP_1)
	v_rcp_f64_e32 v[32:33], v[30:31]
	v_nop
	v_fma_f64 v[34:35], -v[30:31], v[32:33], 1.0
	s_delay_alu instid0(VALU_DEP_1) | instskip(NEXT) | instid1(VALU_DEP_1)
	v_fmac_f64_e32 v[32:33], v[32:33], v[34:35]
	v_fma_f64 v[34:35], -v[30:31], v[32:33], 1.0
	s_delay_alu instid0(VALU_DEP_1) | instskip(NEXT) | instid1(VALU_DEP_1)
	v_fmac_f64_e32 v[32:33], v[32:33], v[34:35]
	v_mul_f64_e32 v[34:35], v[36:37], v[32:33]
	s_delay_alu instid0(VALU_DEP_1) | instskip(SKIP_2) | instid1(VALU_DEP_3)
	v_fma_f64 v[30:31], -v[30:31], v[34:35], v[36:37]
	v_mul_f64_e32 v[36:37], v[8:9], v[12:13]
	v_mul_f64_e64 v[12:13], v[12:13], -v[6:7]
	v_div_fmas_f64 v[30:31], v[30:31], v[32:33], v[34:35]
	s_delay_alu instid0(VALU_DEP_3) | instskip(NEXT) | instid1(VALU_DEP_3)
	v_fmac_f64_e32 v[36:37], v[6:7], v[10:11]
	v_fmac_f64_e32 v[12:13], v[8:9], v[10:11]
	s_delay_alu instid0(VALU_DEP_3) | instskip(NEXT) | instid1(VALU_DEP_1)
	v_div_fixup_f64 v[28:29], v[30:31], v[28:29], 1.0
	v_mul_f64_e32 v[6:7], v[36:37], v[28:29]
	s_delay_alu instid0(VALU_DEP_3)
	v_mul_f64_e32 v[8:9], v[12:13], v[28:29]
	global_store_b128 v[22:23], v[6:9], off
	s_wait_xcnt 0x0
	v_cmpx_lt_i32_e64 v0, v21
	s_cbranch_execz .LBB45_10
; %bb.17:                               ;   in Loop: Header=BB45_12 Depth=1
	v_mov_b32_e32 v10, v20
	s_mov_b32 s23, 0
	s_branch .LBB45_19
.LBB45_18:                              ;   in Loop: Header=BB45_19 Depth=2
	s_wait_xcnt 0x0
	s_or_b32 exec_lo, exec_lo, s24
	v_add_nc_u32_e32 v0, 32, v0
	s_delay_alu instid0(VALU_DEP_1) | instskip(SKIP_1) | instid1(SALU_CYCLE_1)
	v_cmp_ge_i32_e32 vcc_lo, v0, v21
	s_or_b32 s23, vcc_lo, s23
	s_and_not1_b32 exec_lo, exec_lo, s23
	s_cbranch_execz .LBB45_10
.LBB45_19:                              ;   Parent Loop BB45_12 Depth=1
                                        ; =>  This Loop Header: Depth=2
                                        ;       Child Loop BB45_21 Depth 3
	s_delay_alu instid0(VALU_DEP_1) | instskip(SKIP_1) | instid1(VALU_DEP_1)
	v_add_nc_u32_e32 v1, v10, v26
	s_mov_b32 s24, exec_lo
	v_ashrrev_i32_e32 v1, 1, v1
	s_clause 0x1
	global_load_b32 v11, v0, s[6:7] scale_offset
	global_load_b32 v12, v1, s[6:7] scale_offset
	s_wait_xcnt 0x0
	v_cmpx_lt_i32_e64 v10, v26
	s_cbranch_execz .LBB45_23
; %bb.20:                               ;   in Loop: Header=BB45_19 Depth=2
	v_mov_b32_e32 v13, v26
	s_mov_b32 s25, 0
.LBB45_21:                              ;   Parent Loop BB45_12 Depth=1
                                        ;     Parent Loop BB45_19 Depth=2
                                        ; =>    This Inner Loop Header: Depth=3
	s_wait_loadcnt 0x0
	v_cmp_lt_i32_e32 vcc_lo, v12, v11
	s_delay_alu instid0(VALU_DEP_2) | instskip(SKIP_1) | instid1(VALU_DEP_1)
	v_cndmask_b32_e32 v13, v1, v13, vcc_lo
	v_add_nc_u32_e32 v22, 1, v1
	v_cndmask_b32_e32 v10, v10, v22, vcc_lo
	s_delay_alu instid0(VALU_DEP_1) | instskip(SKIP_1) | instid1(VALU_DEP_2)
	v_add_nc_u32_e32 v1, v13, v10
	v_cmp_ge_i32_e32 vcc_lo, v10, v13
	v_ashrrev_i32_e32 v1, 1, v1
	s_or_b32 s25, vcc_lo, s25
	global_load_b32 v12, v1, s[6:7] scale_offset
	s_wait_xcnt 0x0
	s_and_not1_b32 exec_lo, exec_lo, s25
	s_cbranch_execnz .LBB45_21
; %bb.22:                               ;   in Loop: Header=BB45_19 Depth=2
	s_or_b32 exec_lo, exec_lo, s25
.LBB45_23:                              ;   in Loop: Header=BB45_19 Depth=2
	s_delay_alu instid0(SALU_CYCLE_1)
	s_or_b32 exec_lo, exec_lo, s24
	v_ashrrev_i32_e32 v1, 31, v0
	s_mov_b32 s24, exec_lo
	s_wait_loadcnt 0x0
	v_cmpx_eq_u32_e64 v12, v11
	s_cbranch_execz .LBB45_18
; %bb.24:                               ;   in Loop: Header=BB45_19 Depth=2
	v_lshl_add_u64 v[12:13], v[0:1], 4, s[8:9]
	s_clause 0x1
	global_load_b128 v[28:31], v[12:13], off
	global_load_b128 v[32:35], v10, s[8:9] scale_offset
	s_wait_loadcnt 0x0
	v_fma_f64 v[32:33], -v[6:7], v[28:29], v[32:33]
	s_wait_xcnt 0x1
	v_fma_f64 v[12:13], -v[8:9], v[28:29], v[34:35]
	s_delay_alu instid0(VALU_DEP_2) | instskip(NEXT) | instid1(VALU_DEP_2)
	v_fmac_f64_e32 v[32:33], v[8:9], v[30:31]
	v_fma_f64 v[34:35], -v[6:7], v[30:31], v[12:13]
	global_store_b128 v10, v[32:35], s[8:9] scale_offset
	s_branch .LBB45_18
.LBB45_25:
	s_or_b32 exec_lo, exec_lo, s14
	s_delay_alu instid0(SALU_CYCLE_1)
	s_mov_b32 s4, exec_lo
	s_wait_storecnt_dscnt 0x0
	v_cmpx_lt_i32_e32 -1, v18
	s_cbranch_execz .LBB45_47
; %bb.26:
	global_load_b128 v[6:9], v18, s[8:9] scale_offset
	s_mov_b32 s2, exec_lo
                                        ; implicit-def: $vgpr12_vgpr13
	s_wait_loadcnt 0x0
	v_cmp_gt_f64_e32 vcc_lo, 0, v[6:7]
	v_xor_b32_e32 v1, 0x80000000, v7
	v_mov_b32_e32 v0, v6
	v_xor_b32_e32 v10, 0x80000000, v9
	s_delay_alu instid0(VALU_DEP_3) | instskip(SKIP_1) | instid1(VALU_DEP_3)
	v_cndmask_b32_e32 v1, v7, v1, vcc_lo
	v_cmp_gt_f64_e32 vcc_lo, 0, v[8:9]
	v_dual_cndmask_b32 v11, v9, v10 :: v_dual_mov_b32 v10, v8
	s_delay_alu instid0(VALU_DEP_1)
	v_cmpx_ngt_f64_e32 v[0:1], v[10:11]
	s_xor_b32 s2, exec_lo, s2
	s_cbranch_execz .LBB45_30
; %bb.27:
	v_mov_b64_e32 v[12:13], 0
	s_mov_b32 s5, exec_lo
	v_cmpx_neq_f64_e32 0, v[8:9]
	s_cbranch_execz .LBB45_29
; %bb.28:
	v_div_scale_f64 v[12:13], null, v[10:11], v[10:11], v[0:1]
	v_div_scale_f64 v[26:27], vcc_lo, v[0:1], v[10:11], v[0:1]
	s_delay_alu instid0(VALU_DEP_2) | instskip(SKIP_1) | instid1(TRANS32_DEP_1)
	v_rcp_f64_e32 v[20:21], v[12:13]
	v_nop
	v_fma_f64 v[22:23], -v[12:13], v[20:21], 1.0
	s_delay_alu instid0(VALU_DEP_1) | instskip(NEXT) | instid1(VALU_DEP_1)
	v_fmac_f64_e32 v[20:21], v[20:21], v[22:23]
	v_fma_f64 v[22:23], -v[12:13], v[20:21], 1.0
	s_delay_alu instid0(VALU_DEP_1) | instskip(NEXT) | instid1(VALU_DEP_1)
	v_fmac_f64_e32 v[20:21], v[20:21], v[22:23]
	v_mul_f64_e32 v[22:23], v[26:27], v[20:21]
	s_delay_alu instid0(VALU_DEP_1) | instskip(NEXT) | instid1(VALU_DEP_1)
	v_fma_f64 v[12:13], -v[12:13], v[22:23], v[26:27]
	v_div_fmas_f64 v[12:13], v[12:13], v[20:21], v[22:23]
	s_delay_alu instid0(VALU_DEP_1) | instskip(NEXT) | instid1(VALU_DEP_1)
	v_div_fixup_f64 v[0:1], v[12:13], v[10:11], v[0:1]
	v_fma_f64 v[0:1], v[0:1], v[0:1], 1.0
	s_delay_alu instid0(VALU_DEP_1) | instskip(SKIP_1) | instid1(VALU_DEP_1)
	v_cmp_gt_f64_e32 vcc_lo, 0x10000000, v[0:1]
	v_cndmask_b32_e64 v12, 0, 0x100, vcc_lo
	v_ldexp_f64 v[0:1], v[0:1], v12
	s_delay_alu instid0(VALU_DEP_1) | instskip(SKIP_1) | instid1(TRANS32_DEP_1)
	v_rsq_f64_e32 v[12:13], v[0:1]
	v_nop
	v_mul_f64_e32 v[20:21], v[0:1], v[12:13]
	v_mul_f64_e32 v[12:13], 0.5, v[12:13]
	s_delay_alu instid0(VALU_DEP_1) | instskip(NEXT) | instid1(VALU_DEP_1)
	v_fma_f64 v[22:23], -v[12:13], v[20:21], 0.5
	v_fmac_f64_e32 v[20:21], v[20:21], v[22:23]
	v_fmac_f64_e32 v[12:13], v[12:13], v[22:23]
	s_delay_alu instid0(VALU_DEP_2) | instskip(NEXT) | instid1(VALU_DEP_1)
	v_fma_f64 v[22:23], -v[20:21], v[20:21], v[0:1]
	v_fmac_f64_e32 v[20:21], v[22:23], v[12:13]
	s_delay_alu instid0(VALU_DEP_1) | instskip(NEXT) | instid1(VALU_DEP_1)
	v_fma_f64 v[22:23], -v[20:21], v[20:21], v[0:1]
	v_fmac_f64_e32 v[20:21], v[22:23], v[12:13]
	v_cndmask_b32_e64 v12, 0, 0xffffff80, vcc_lo
	v_cmp_class_f64_e64 vcc_lo, v[0:1], 0x260
	s_delay_alu instid0(VALU_DEP_2) | instskip(NEXT) | instid1(VALU_DEP_1)
	v_ldexp_f64 v[12:13], v[20:21], v12
	v_dual_cndmask_b32 v1, v13, v1 :: v_dual_cndmask_b32 v0, v12, v0
	s_delay_alu instid0(VALU_DEP_1)
	v_mul_f64_e32 v[12:13], v[10:11], v[0:1]
.LBB45_29:
	s_or_b32 exec_lo, exec_lo, s5
                                        ; implicit-def: $vgpr0_vgpr1
                                        ; implicit-def: $vgpr10_vgpr11
.LBB45_30:
	s_and_not1_saveexec_b32 s2, s2
	s_cbranch_execz .LBB45_32
; %bb.31:
	v_div_scale_f64 v[12:13], null, v[0:1], v[0:1], v[10:11]
	v_div_scale_f64 v[26:27], vcc_lo, v[10:11], v[0:1], v[10:11]
	s_delay_alu instid0(VALU_DEP_2) | instskip(SKIP_1) | instid1(TRANS32_DEP_1)
	v_rcp_f64_e32 v[20:21], v[12:13]
	v_nop
	v_fma_f64 v[22:23], -v[12:13], v[20:21], 1.0
	s_delay_alu instid0(VALU_DEP_1) | instskip(NEXT) | instid1(VALU_DEP_1)
	v_fmac_f64_e32 v[20:21], v[20:21], v[22:23]
	v_fma_f64 v[22:23], -v[12:13], v[20:21], 1.0
	s_delay_alu instid0(VALU_DEP_1) | instskip(NEXT) | instid1(VALU_DEP_1)
	v_fmac_f64_e32 v[20:21], v[20:21], v[22:23]
	v_mul_f64_e32 v[22:23], v[26:27], v[20:21]
	s_delay_alu instid0(VALU_DEP_1) | instskip(NEXT) | instid1(VALU_DEP_1)
	v_fma_f64 v[12:13], -v[12:13], v[22:23], v[26:27]
	v_div_fmas_f64 v[12:13], v[12:13], v[20:21], v[22:23]
	s_delay_alu instid0(VALU_DEP_1) | instskip(NEXT) | instid1(VALU_DEP_1)
	v_div_fixup_f64 v[10:11], v[12:13], v[0:1], v[10:11]
	v_fma_f64 v[10:11], v[10:11], v[10:11], 1.0
	s_delay_alu instid0(VALU_DEP_1) | instskip(SKIP_1) | instid1(VALU_DEP_1)
	v_cmp_gt_f64_e32 vcc_lo, 0x10000000, v[10:11]
	v_cndmask_b32_e64 v12, 0, 0x100, vcc_lo
	v_ldexp_f64 v[10:11], v[10:11], v12
	s_delay_alu instid0(VALU_DEP_1) | instskip(SKIP_1) | instid1(TRANS32_DEP_1)
	v_rsq_f64_e32 v[12:13], v[10:11]
	v_nop
	v_mul_f64_e32 v[20:21], v[10:11], v[12:13]
	v_mul_f64_e32 v[12:13], 0.5, v[12:13]
	s_delay_alu instid0(VALU_DEP_1) | instskip(NEXT) | instid1(VALU_DEP_1)
	v_fma_f64 v[22:23], -v[12:13], v[20:21], 0.5
	v_fmac_f64_e32 v[20:21], v[20:21], v[22:23]
	v_fmac_f64_e32 v[12:13], v[12:13], v[22:23]
	s_delay_alu instid0(VALU_DEP_2) | instskip(NEXT) | instid1(VALU_DEP_1)
	v_fma_f64 v[22:23], -v[20:21], v[20:21], v[10:11]
	v_fmac_f64_e32 v[20:21], v[22:23], v[12:13]
	s_delay_alu instid0(VALU_DEP_1) | instskip(NEXT) | instid1(VALU_DEP_1)
	v_fma_f64 v[22:23], -v[20:21], v[20:21], v[10:11]
	v_fmac_f64_e32 v[20:21], v[22:23], v[12:13]
	v_cndmask_b32_e64 v12, 0, 0xffffff80, vcc_lo
	v_cmp_class_f64_e64 vcc_lo, v[10:11], 0x260
	s_delay_alu instid0(VALU_DEP_2) | instskip(NEXT) | instid1(VALU_DEP_1)
	v_ldexp_f64 v[12:13], v[20:21], v12
	v_dual_cndmask_b32 v11, v13, v11 :: v_dual_cndmask_b32 v10, v12, v10
	s_delay_alu instid0(VALU_DEP_1)
	v_mul_f64_e32 v[12:13], v[0:1], v[10:11]
.LBB45_32:
	s_or_b32 exec_lo, exec_lo, s2
	v_cmp_ne_u32_e32 vcc_lo, 1, v19
	v_cmp_eq_u32_e64 s2, 0, v24
	s_mov_b32 s5, -1
	s_cbranch_vccnz .LBB45_36
; %bb.33:
	v_cvt_f64_f32_e32 v[0:1], s3
	s_cmp_eq_u64 s[20:21], 8
	s_cselect_b32 vcc_lo, -1, 0
	s_delay_alu instid0(VALU_DEP_1) | instskip(NEXT) | instid1(VALU_DEP_1)
	v_dual_cndmask_b32 v1, v1, v17 :: v_dual_cndmask_b32 v0, v0, v16
	v_cmp_le_f64_e32 vcc_lo, v[12:13], v[0:1]
	s_and_b32 s5, s2, vcc_lo
	s_delay_alu instid0(SALU_CYCLE_1)
	s_and_saveexec_b32 s3, s5
	s_cbranch_execz .LBB45_35
; %bb.34:
	v_mov_b32_e32 v19, 0
	s_delay_alu instid0(VALU_DEP_1)
	v_lshl_add_u64 v[0:1], v[18:19], 4, s[8:9]
	global_store_b128 v[0:1], v[2:5], off
.LBB45_35:
	s_wait_xcnt 0x0
	s_or_b32 exec_lo, exec_lo, s3
	s_mov_b32 s5, 0
.LBB45_36:
	s_delay_alu instid0(SALU_CYCLE_1)
	s_and_not1_b32 vcc_lo, exec_lo, s5
	s_cbranch_vccnz .LBB45_47
; %bb.37:
	s_load_b64 s[0:1], s[0:1], 0x48
	v_add_nc_u32_e32 v0, s28, v14
	s_wait_kmcnt 0x0
	v_cmp_ge_f64_e32 vcc_lo, s[0:1], v[12:13]
	s_and_b32 s1, s2, vcc_lo
	s_delay_alu instid0(SALU_CYCLE_1)
	s_and_saveexec_b32 s0, s1
	s_cbranch_execz .LBB45_42
; %bb.38:
	s_mov_b32 s3, exec_lo
	s_brev_b32 s1, -2
.LBB45_39:                              ; =>This Inner Loop Header: Depth=1
	s_ctz_i32_b32 s5, s3
	s_delay_alu instid0(SALU_CYCLE_1) | instskip(SKIP_1) | instid1(SALU_CYCLE_1)
	v_readlane_b32 s6, v0, s5
	s_lshl_b32 s5, 1, s5
	s_and_not1_b32 s3, s3, s5
	s_min_i32 s1, s1, s6
	s_cmp_lg_u32 s3, 0
	s_cbranch_scc1 .LBB45_39
; %bb.40:
	v_mbcnt_lo_u32_b32 v1, exec_lo, 0
	s_mov_b32 s3, exec_lo
	s_delay_alu instid0(VALU_DEP_1)
	v_cmpx_eq_u32_e32 0, v1
	s_xor_b32 s3, exec_lo, s3
	s_cbranch_execz .LBB45_42
; %bb.41:
	v_dual_mov_b32 v1, 0 :: v_dual_mov_b32 v2, s1
	global_atomic_min_i32 v1, v2, s[18:19] scope:SCOPE_DEV
.LBB45_42:
	s_wait_xcnt 0x0
	s_or_b32 exec_lo, exec_lo, s0
	v_cmp_eq_f64_e32 vcc_lo, 0, v[6:7]
	v_cmp_eq_f64_e64 s0, 0, v[8:9]
	s_and_b32 s0, vcc_lo, s0
	s_delay_alu instid0(SALU_CYCLE_1) | instskip(NEXT) | instid1(SALU_CYCLE_1)
	s_and_b32 s0, s2, s0
	s_and_b32 exec_lo, exec_lo, s0
	s_cbranch_execz .LBB45_47
; %bb.43:
	s_mov_b32 s1, exec_lo
	s_brev_b32 s0, -2
.LBB45_44:                              ; =>This Inner Loop Header: Depth=1
	s_ctz_i32_b32 s2, s1
	s_delay_alu instid0(SALU_CYCLE_1) | instskip(SKIP_1) | instid1(SALU_CYCLE_1)
	v_readlane_b32 s3, v0, s2
	s_lshl_b32 s2, 1, s2
	s_and_not1_b32 s1, s1, s2
	s_min_i32 s0, s0, s3
	s_cmp_lg_u32 s1, 0
	s_cbranch_scc1 .LBB45_44
; %bb.45:
	v_mbcnt_lo_u32_b32 v0, exec_lo, 0
	s_mov_b32 s1, exec_lo
	s_delay_alu instid0(VALU_DEP_1)
	v_cmpx_eq_u32_e32 0, v0
	s_xor_b32 s1, exec_lo, s1
	s_cbranch_execz .LBB45_47
; %bb.46:
	v_dual_mov_b32 v0, 0 :: v_dual_mov_b32 v1, s0
	global_atomic_min_i32 v0, v1, s[16:17] scope:SCOPE_DEV
.LBB45_47:
	s_wait_xcnt 0x0
	s_or_b32 exec_lo, exec_lo, s4
	v_cmp_eq_u32_e32 vcc_lo, 0, v24
	global_wb scope:SCOPE_DEV
	s_wait_storecnt 0x0
	global_inv scope:SCOPE_DEV
	s_and_b32 exec_lo, exec_lo, vcc_lo
	s_cbranch_execz .LBB45_49
; %bb.48:
	v_lshl_add_u64 v[0:1], v[14:15], 2, s[12:13]
	v_mov_b32_e32 v2, 1
	global_wb scope:SCOPE_DEV
	s_wait_loadcnt 0x0
	s_wait_storecnt 0x0
	global_store_b32 v[0:1], v2, off scope:SCOPE_DEV
.LBB45_49:
	s_endpgm
	.section	.rodata,"a",@progbits
	.p2align	6, 0x0
	.amdhsa_kernel _ZN9rocsparseL17csrilu0_binsearchILj256ELj32ELb0E21rocsparse_complex_numIdEEEviPKiS4_PT2_S4_PiS4_S7_S7_d21rocsparse_index_base_imNS_24const_host_device_scalarIfEENS9_IdEENS9_IS5_EEb
		.amdhsa_group_segment_fixed_size 0
		.amdhsa_private_segment_fixed_size 16
		.amdhsa_kernarg_size 132
		.amdhsa_user_sgpr_count 2
		.amdhsa_user_sgpr_dispatch_ptr 0
		.amdhsa_user_sgpr_queue_ptr 0
		.amdhsa_user_sgpr_kernarg_segment_ptr 1
		.amdhsa_user_sgpr_dispatch_id 0
		.amdhsa_user_sgpr_kernarg_preload_length 0
		.amdhsa_user_sgpr_kernarg_preload_offset 0
		.amdhsa_user_sgpr_private_segment_size 0
		.amdhsa_wavefront_size32 1
		.amdhsa_uses_dynamic_stack 0
		.amdhsa_enable_private_segment 1
		.amdhsa_system_sgpr_workgroup_id_x 1
		.amdhsa_system_sgpr_workgroup_id_y 0
		.amdhsa_system_sgpr_workgroup_id_z 0
		.amdhsa_system_sgpr_workgroup_info 0
		.amdhsa_system_vgpr_workitem_id 0
		.amdhsa_next_free_vgpr 38
		.amdhsa_next_free_sgpr 30
		.amdhsa_named_barrier_count 0
		.amdhsa_reserve_vcc 1
		.amdhsa_float_round_mode_32 0
		.amdhsa_float_round_mode_16_64 0
		.amdhsa_float_denorm_mode_32 3
		.amdhsa_float_denorm_mode_16_64 3
		.amdhsa_fp16_overflow 0
		.amdhsa_memory_ordered 1
		.amdhsa_forward_progress 1
		.amdhsa_inst_pref_size 19
		.amdhsa_round_robin_scheduling 0
		.amdhsa_exception_fp_ieee_invalid_op 0
		.amdhsa_exception_fp_denorm_src 0
		.amdhsa_exception_fp_ieee_div_zero 0
		.amdhsa_exception_fp_ieee_overflow 0
		.amdhsa_exception_fp_ieee_underflow 0
		.amdhsa_exception_fp_ieee_inexact 0
		.amdhsa_exception_int_div_zero 0
	.end_amdhsa_kernel
	.section	.text._ZN9rocsparseL17csrilu0_binsearchILj256ELj32ELb0E21rocsparse_complex_numIdEEEviPKiS4_PT2_S4_PiS4_S7_S7_d21rocsparse_index_base_imNS_24const_host_device_scalarIfEENS9_IdEENS9_IS5_EEb,"axG",@progbits,_ZN9rocsparseL17csrilu0_binsearchILj256ELj32ELb0E21rocsparse_complex_numIdEEEviPKiS4_PT2_S4_PiS4_S7_S7_d21rocsparse_index_base_imNS_24const_host_device_scalarIfEENS9_IdEENS9_IS5_EEb,comdat
.Lfunc_end45:
	.size	_ZN9rocsparseL17csrilu0_binsearchILj256ELj32ELb0E21rocsparse_complex_numIdEEEviPKiS4_PT2_S4_PiS4_S7_S7_d21rocsparse_index_base_imNS_24const_host_device_scalarIfEENS9_IdEENS9_IS5_EEb, .Lfunc_end45-_ZN9rocsparseL17csrilu0_binsearchILj256ELj32ELb0E21rocsparse_complex_numIdEEEviPKiS4_PT2_S4_PiS4_S7_S7_d21rocsparse_index_base_imNS_24const_host_device_scalarIfEENS9_IdEENS9_IS5_EEb
                                        ; -- End function
	.set _ZN9rocsparseL17csrilu0_binsearchILj256ELj32ELb0E21rocsparse_complex_numIdEEEviPKiS4_PT2_S4_PiS4_S7_S7_d21rocsparse_index_base_imNS_24const_host_device_scalarIfEENS9_IdEENS9_IS5_EEb.num_vgpr, 38
	.set _ZN9rocsparseL17csrilu0_binsearchILj256ELj32ELb0E21rocsparse_complex_numIdEEEviPKiS4_PT2_S4_PiS4_S7_S7_d21rocsparse_index_base_imNS_24const_host_device_scalarIfEENS9_IdEENS9_IS5_EEb.num_agpr, 0
	.set _ZN9rocsparseL17csrilu0_binsearchILj256ELj32ELb0E21rocsparse_complex_numIdEEEviPKiS4_PT2_S4_PiS4_S7_S7_d21rocsparse_index_base_imNS_24const_host_device_scalarIfEENS9_IdEENS9_IS5_EEb.numbered_sgpr, 30
	.set _ZN9rocsparseL17csrilu0_binsearchILj256ELj32ELb0E21rocsparse_complex_numIdEEEviPKiS4_PT2_S4_PiS4_S7_S7_d21rocsparse_index_base_imNS_24const_host_device_scalarIfEENS9_IdEENS9_IS5_EEb.num_named_barrier, 0
	.set _ZN9rocsparseL17csrilu0_binsearchILj256ELj32ELb0E21rocsparse_complex_numIdEEEviPKiS4_PT2_S4_PiS4_S7_S7_d21rocsparse_index_base_imNS_24const_host_device_scalarIfEENS9_IdEENS9_IS5_EEb.private_seg_size, 16
	.set _ZN9rocsparseL17csrilu0_binsearchILj256ELj32ELb0E21rocsparse_complex_numIdEEEviPKiS4_PT2_S4_PiS4_S7_S7_d21rocsparse_index_base_imNS_24const_host_device_scalarIfEENS9_IdEENS9_IS5_EEb.uses_vcc, 1
	.set _ZN9rocsparseL17csrilu0_binsearchILj256ELj32ELb0E21rocsparse_complex_numIdEEEviPKiS4_PT2_S4_PiS4_S7_S7_d21rocsparse_index_base_imNS_24const_host_device_scalarIfEENS9_IdEENS9_IS5_EEb.uses_flat_scratch, 0
	.set _ZN9rocsparseL17csrilu0_binsearchILj256ELj32ELb0E21rocsparse_complex_numIdEEEviPKiS4_PT2_S4_PiS4_S7_S7_d21rocsparse_index_base_imNS_24const_host_device_scalarIfEENS9_IdEENS9_IS5_EEb.has_dyn_sized_stack, 0
	.set _ZN9rocsparseL17csrilu0_binsearchILj256ELj32ELb0E21rocsparse_complex_numIdEEEviPKiS4_PT2_S4_PiS4_S7_S7_d21rocsparse_index_base_imNS_24const_host_device_scalarIfEENS9_IdEENS9_IS5_EEb.has_recursion, 0
	.set _ZN9rocsparseL17csrilu0_binsearchILj256ELj32ELb0E21rocsparse_complex_numIdEEEviPKiS4_PT2_S4_PiS4_S7_S7_d21rocsparse_index_base_imNS_24const_host_device_scalarIfEENS9_IdEENS9_IS5_EEb.has_indirect_call, 0
	.section	.AMDGPU.csdata,"",@progbits
; Kernel info:
; codeLenInByte = 2424
; TotalNumSgprs: 32
; NumVgprs: 38
; ScratchSize: 16
; MemoryBound: 0
; FloatMode: 240
; IeeeMode: 1
; LDSByteSize: 0 bytes/workgroup (compile time only)
; SGPRBlocks: 0
; VGPRBlocks: 2
; NumSGPRsForWavesPerEU: 32
; NumVGPRsForWavesPerEU: 38
; NamedBarCnt: 0
; Occupancy: 16
; WaveLimiterHint : 1
; COMPUTE_PGM_RSRC2:SCRATCH_EN: 1
; COMPUTE_PGM_RSRC2:USER_SGPR: 2
; COMPUTE_PGM_RSRC2:TRAP_HANDLER: 0
; COMPUTE_PGM_RSRC2:TGID_X_EN: 1
; COMPUTE_PGM_RSRC2:TGID_Y_EN: 0
; COMPUTE_PGM_RSRC2:TGID_Z_EN: 0
; COMPUTE_PGM_RSRC2:TIDIG_COMP_CNT: 0
	.section	.text._ZN9rocsparseL12csrilu0_hashILj256ELj64ELj1E21rocsparse_complex_numIdEEEviPKiS4_PT2_S4_PiS4_S7_S7_d21rocsparse_index_base_imNS_24const_host_device_scalarIfEENS9_IdEENS9_IS5_EEb,"axG",@progbits,_ZN9rocsparseL12csrilu0_hashILj256ELj64ELj1E21rocsparse_complex_numIdEEEviPKiS4_PT2_S4_PiS4_S7_S7_d21rocsparse_index_base_imNS_24const_host_device_scalarIfEENS9_IdEENS9_IS5_EEb,comdat
	.globl	_ZN9rocsparseL12csrilu0_hashILj256ELj64ELj1E21rocsparse_complex_numIdEEEviPKiS4_PT2_S4_PiS4_S7_S7_d21rocsparse_index_base_imNS_24const_host_device_scalarIfEENS9_IdEENS9_IS5_EEb ; -- Begin function _ZN9rocsparseL12csrilu0_hashILj256ELj64ELj1E21rocsparse_complex_numIdEEEviPKiS4_PT2_S4_PiS4_S7_S7_d21rocsparse_index_base_imNS_24const_host_device_scalarIfEENS9_IdEENS9_IS5_EEb
	.p2align	8
	.type	_ZN9rocsparseL12csrilu0_hashILj256ELj64ELj1E21rocsparse_complex_numIdEEEviPKiS4_PT2_S4_PiS4_S7_S7_d21rocsparse_index_base_imNS_24const_host_device_scalarIfEENS9_IdEENS9_IS5_EEb,@function
_ZN9rocsparseL12csrilu0_hashILj256ELj64ELj1E21rocsparse_complex_numIdEEEviPKiS4_PT2_S4_PiS4_S7_S7_d21rocsparse_index_base_imNS_24const_host_device_scalarIfEENS9_IdEENS9_IS5_EEb: ; @_ZN9rocsparseL12csrilu0_hashILj256ELj64ELj1E21rocsparse_complex_numIdEEEviPKiS4_PT2_S4_PiS4_S7_S7_d21rocsparse_index_base_imNS_24const_host_device_scalarIfEENS9_IdEENS9_IS5_EEb
; %bb.0:
	s_clause 0x2
	s_load_b96 s[4:6], s[0:1], 0x78
	s_load_b64 s[28:29], s[0:1], 0x50
	s_load_b256 s[20:27], s[0:1], 0x58
	s_wait_kmcnt 0x0
	s_bitcmp1_b32 s6, 0
	s_cselect_b32 s2, -1, 0
	s_cmp_eq_u32 s29, 0
	v_mov_b64_e32 v[2:3], s[26:27]
	s_cselect_b32 s3, -1, 0
	s_cmp_lg_u32 s29, 0
	s_cselect_b32 s8, -1, 0
	s_or_b32 s10, s3, s2
	s_delay_alu instid0(SALU_CYCLE_1)
	s_xor_b32 s9, s10, -1
	s_and_b32 s3, s3, exec_lo
	s_cselect_b32 s7, 0, s25
	s_cselect_b32 s6, 0, s24
	;; [unrolled: 1-line block ×3, first 2 shown]
	s_and_b32 vcc_lo, exec_lo, s10
	scratch_store_b64 off, v[2:3], off
	s_cbranch_vccnz .LBB46_2
; %bb.1:
	s_load_b32 s3, s[22:23], 0x0
	s_mov_b64 s[6:7], s[24:25]
.LBB46_2:
	s_delay_alu instid0(SALU_CYCLE_1)
	v_mov_b64_e32 v[14:15], s[6:7]
	s_and_not1_b32 vcc_lo, exec_lo, s9
	s_cbranch_vccnz .LBB46_4
; %bb.3:
	v_mov_b32_e32 v1, 0
	flat_load_b64 v[14:15], v1, s[24:25]
.LBB46_4:
	v_mov_b64_e32 v[4:5], 0
	s_wait_xcnt 0x0
	v_mov_b64_e32 v[2:3], 0
	v_cndmask_b32_e64 v17, 0, 1, s8
	s_and_not1_b32 vcc_lo, exec_lo, s8
	s_cbranch_vccnz .LBB46_7
; %bb.5:
	v_mbcnt_lo_u32_b32 v1, -1, 0
	v_mov_b32_e32 v2, 0
	v_mov_b64_e32 v[4:5], s[4:5]
	s_delay_alu instid0(VALU_DEP_3) | instskip(NEXT) | instid1(VALU_DEP_1)
	v_lshlrev_b32_e32 v3, 20, v1
	v_add_nc_u64_e32 v[2:3], src_flat_scratch_base_lo, v[2:3]
	s_delay_alu instid0(VALU_DEP_1) | instskip(NEXT) | instid1(VALU_DEP_2)
	v_cndmask_b32_e64 v3, s27, v3, s2
	v_cndmask_b32_e64 v2, s26, v2, s2
	s_xor_b32 s2, s2, -1
	s_delay_alu instid0(SALU_CYCLE_1)
	s_and_not1_b32 vcc_lo, exec_lo, s2
	flat_load_b64 v[2:3], v[2:3]
	s_cbranch_vccnz .LBB46_7
; %bb.6:
	v_mov_b32_e32 v1, 0
	flat_load_b64 v[4:5], v1, s[26:27] offset:8
.LBB46_7:
	s_load_b32 s2, s[0:1], 0x0
	s_bfe_u32 s4, ttmp6, 0x4000c
	s_and_b32 s5, ttmp6, 15
	s_add_co_i32 s4, s4, 1
	s_getreg_b32 s6, hwreg(HW_REG_IB_STS2, 6, 4)
	s_mul_i32 s4, ttmp9, s4
	v_and_b32_e32 v22, 63, v0
	s_add_co_i32 s5, s5, s4
	s_cmp_eq_u32 s6, 0
	v_and_b32_e32 v8, 0xc0, v0
	v_lshrrev_b32_e32 v0, 6, v0
	s_cselect_b32 s4, ttmp9, s5
	v_mov_b32_e32 v6, -1
	s_lshl_b32 s4, s4, 2
	v_lshl_or_b32 v23, v8, 2, 0x400
	v_and_or_b32 v0, 0x3fffffc, s4, v0
	s_delay_alu instid0(VALU_DEP_2) | instskip(SKIP_1) | instid1(VALU_DEP_2)
	v_lshl_or_b32 v1, v22, 2, v23
	s_wait_kmcnt 0x0
	v_cmp_gt_i32_e32 vcc_lo, s2, v0
	ds_store_b32 v1, v6
	s_wait_storecnt 0x0
	s_wait_loadcnt_dscnt 0x0
	s_and_saveexec_b32 s2, vcc_lo
	s_cbranch_execz .LBB46_85
; %bb.8:
	s_load_b512 s[4:19], s[0:1], 0x8
	v_lshlrev_b32_e32 v24, 2, v8
	s_mov_b32 s2, exec_lo
	s_wait_kmcnt 0x0
	global_load_b32 v0, v0, s[14:15] scale_offset
	s_wait_loadcnt 0x0
	v_ashrrev_i32_e32 v1, 31, v0
	s_delay_alu instid0(VALU_DEP_1)
	v_lshl_add_u64 v[6:7], v[0:1], 2, s[4:5]
	global_load_b64 v[10:11], v[6:7], off
	global_load_b32 v16, v0, s[10:11] scale_offset
	s_wait_loadcnt 0x1
	v_subrev_nc_u32_e32 v18, s28, v10
	v_subrev_nc_u32_e32 v6, s28, v11
	s_delay_alu instid0(VALU_DEP_2) | instskip(SKIP_1) | instid1(VALU_DEP_1)
	v_add_nc_u32_e32 v7, v18, v22
	s_wait_xcnt 0x0
	v_cmpx_lt_i32_e64 v7, v6
	s_cbranch_execz .LBB46_31
; %bb.9:
	v_mov_b32_e32 v8, -1
	s_mov_b32 s14, 0
	s_branch .LBB46_11
.LBB46_10:                              ;   in Loop: Header=BB46_11 Depth=1
	s_or_b32 exec_lo, exec_lo, s15
	v_add_nc_u32_e32 v7, 64, v7
	s_delay_alu instid0(VALU_DEP_1) | instskip(SKIP_1) | instid1(SALU_CYCLE_1)
	v_cmp_ge_i32_e32 vcc_lo, v7, v6
	s_or_b32 s14, vcc_lo, s14
	s_and_not1_b32 exec_lo, exec_lo, s14
	s_cbranch_execz .LBB46_31
.LBB46_11:                              ; =>This Loop Header: Depth=1
                                        ;     Child Loop BB46_20 Depth 2
	global_load_b32 v9, v7, s[6:7] scale_offset
	v_mov_b32_e32 v10, 64
	s_mov_b32 s15, 0
                                        ; implicit-def: $sgpr22
                                        ; implicit-def: $sgpr23
                                        ; implicit-def: $sgpr24
	s_wait_loadcnt 0x0
	v_mul_lo_u32 v12, v9, 39
	s_branch .LBB46_20
.LBB46_12:                              ;   in Loop: Header=BB46_20 Depth=2
	s_or_b32 exec_lo, exec_lo, s36
	s_delay_alu instid0(SALU_CYCLE_1)
	s_or_not1_b32 s34, s34, exec_lo
	s_or_not1_b32 s35, s35, exec_lo
.LBB46_13:                              ;   in Loop: Header=BB46_20 Depth=2
	s_or_b32 exec_lo, exec_lo, s33
	s_delay_alu instid0(SALU_CYCLE_1)
	s_and_b32 s34, s34, exec_lo
	s_or_not1_b32 s33, s35, exec_lo
.LBB46_14:                              ;   in Loop: Header=BB46_20 Depth=2
	s_or_b32 exec_lo, exec_lo, s31
	s_delay_alu instid0(SALU_CYCLE_1)
	s_or_not1_b32 s31, s34, exec_lo
	s_or_not1_b32 s33, s33, exec_lo
.LBB46_15:                              ;   in Loop: Header=BB46_20 Depth=2
	s_or_b32 exec_lo, exec_lo, s30
	s_delay_alu instid0(SALU_CYCLE_1)
	s_and_b32 s31, s31, exec_lo
	s_or_not1_b32 s30, s33, exec_lo
.LBB46_16:                              ;   in Loop: Header=BB46_20 Depth=2
	s_or_b32 exec_lo, exec_lo, s29
	s_delay_alu instid0(SALU_CYCLE_1)
	s_or_not1_b32 s29, s31, exec_lo
	s_or_not1_b32 s30, s30, exec_lo
.LBB46_17:                              ;   in Loop: Header=BB46_20 Depth=2
	s_or_b32 exec_lo, exec_lo, s27
	s_delay_alu instid0(SALU_CYCLE_1)
	s_and_b32 s29, s29, exec_lo
	s_or_not1_b32 s27, s30, exec_lo
.LBB46_18:                              ;   in Loop: Header=BB46_20 Depth=2
	s_or_b32 exec_lo, exec_lo, s26
	s_delay_alu instid0(SALU_CYCLE_1)
	s_and_not1_b32 s24, s24, exec_lo
	s_and_b32 s26, s29, exec_lo
	s_and_not1_b32 s23, s23, exec_lo
	s_and_b32 s27, s27, exec_lo
	s_or_b32 s24, s24, s26
	s_or_b32 s23, s23, s27
.LBB46_19:                              ;   in Loop: Header=BB46_20 Depth=2
	s_or_b32 exec_lo, exec_lo, s25
	s_delay_alu instid0(SALU_CYCLE_1) | instskip(NEXT) | instid1(SALU_CYCLE_1)
	s_and_b32 s25, exec_lo, s23
	s_or_b32 s15, s25, s15
	s_and_not1_b32 s22, s22, exec_lo
	s_and_b32 s25, s24, exec_lo
	s_delay_alu instid0(SALU_CYCLE_1)
	s_or_b32 s22, s22, s25
	s_and_not1_b32 exec_lo, exec_lo, s15
	s_cbranch_execz .LBB46_29
.LBB46_20:                              ;   Parent Loop BB46_11 Depth=1
                                        ; =>  This Inner Loop Header: Depth=2
	s_delay_alu instid0(VALU_DEP_1) | instskip(SKIP_3) | instid1(VALU_DEP_1)
	v_and_b32_e32 v11, 63, v12
	s_or_b32 s24, s24, exec_lo
	s_or_b32 s23, s23, exec_lo
	s_mov_b32 s25, exec_lo
	v_lshl_add_u32 v13, v11, 2, v23
	ds_load_b32 v19, v13
	s_wait_dscnt 0x0
	s_wait_xcnt 0x0
	v_cmpx_ne_u32_e64 v19, v9
	s_cbranch_execz .LBB46_19
; %bb.21:                               ;   in Loop: Header=BB46_20 Depth=2
	ds_cmpstore_rtn_b32 v13, v13, v9, v8
	s_mov_b32 s27, -1
	s_mov_b32 s29, 0
	s_mov_b32 s26, exec_lo
	s_wait_dscnt 0x0
	v_cmpx_ne_u32_e32 -1, v13
	s_cbranch_execz .LBB46_18
; %bb.22:                               ;   in Loop: Header=BB46_20 Depth=2
	v_add_nc_u32_e32 v11, 1, v12
	s_mov_b32 s30, -1
	s_mov_b32 s29, -1
	s_mov_b32 s27, exec_lo
	s_delay_alu instid0(VALU_DEP_1) | instskip(NEXT) | instid1(VALU_DEP_1)
	v_and_b32_e32 v11, 63, v11
	v_lshl_add_u32 v13, v11, 2, v23
	ds_load_b32 v19, v13
	s_wait_dscnt 0x0
	v_cmpx_ne_u32_e64 v19, v9
	s_cbranch_execz .LBB46_17
; %bb.23:                               ;   in Loop: Header=BB46_20 Depth=2
	ds_cmpstore_rtn_b32 v13, v13, v9, v8
	s_mov_b32 s31, 0
	s_mov_b32 s29, exec_lo
	s_wait_dscnt 0x0
	v_cmpx_ne_u32_e32 -1, v13
	s_cbranch_execz .LBB46_16
; %bb.24:                               ;   in Loop: Header=BB46_20 Depth=2
	v_add_nc_u32_e32 v11, 2, v12
	s_mov_b32 s33, -1
	s_mov_b32 s31, -1
	s_mov_b32 s30, exec_lo
	s_delay_alu instid0(VALU_DEP_1) | instskip(NEXT) | instid1(VALU_DEP_1)
	v_and_b32_e32 v11, 63, v11
	v_lshl_add_u32 v13, v11, 2, v23
	ds_load_b32 v19, v13
	s_wait_dscnt 0x0
	v_cmpx_ne_u32_e64 v19, v9
	s_cbranch_execz .LBB46_15
; %bb.25:                               ;   in Loop: Header=BB46_20 Depth=2
	ds_cmpstore_rtn_b32 v13, v13, v9, v8
	s_mov_b32 s34, 0
	s_mov_b32 s31, exec_lo
	s_wait_dscnt 0x0
	v_cmpx_ne_u32_e32 -1, v13
	s_cbranch_execz .LBB46_14
; %bb.26:                               ;   in Loop: Header=BB46_20 Depth=2
	v_add_nc_u32_e32 v11, 3, v12
	s_mov_b32 s35, -1
	s_mov_b32 s34, -1
	s_delay_alu instid0(VALU_DEP_1) | instskip(NEXT) | instid1(VALU_DEP_1)
	v_and_b32_e32 v11, 63, v11
	v_lshl_add_u32 v13, v11, 2, v23
	ds_load_b32 v12, v13
	s_wait_dscnt 0x0
	v_cmp_ne_u32_e32 vcc_lo, v12, v9
                                        ; implicit-def: $vgpr12
	s_and_saveexec_b32 s33, vcc_lo
	s_cbranch_execz .LBB46_13
; %bb.27:                               ;   in Loop: Header=BB46_20 Depth=2
	ds_cmpstore_rtn_b32 v12, v13, v9, v8
	s_mov_b32 s34, 0
	s_wait_dscnt 0x0
	v_cmp_ne_u32_e32 vcc_lo, -1, v12
                                        ; implicit-def: $vgpr12
	s_and_saveexec_b32 s36, vcc_lo
	s_cbranch_execz .LBB46_12
; %bb.28:                               ;   in Loop: Header=BB46_20 Depth=2
	v_dual_add_nc_u32 v10, -4, v10 :: v_dual_add_nc_u32 v12, 1, v11
	s_mov_b32 s34, exec_lo
	s_delay_alu instid0(VALU_DEP_1)
	v_cmp_eq_u32_e32 vcc_lo, 0, v10
	s_or_not1_b32 s35, vcc_lo, exec_lo
	s_branch .LBB46_12
.LBB46_29:                              ;   in Loop: Header=BB46_11 Depth=1
	s_or_b32 exec_lo, exec_lo, s15
	s_xor_b32 s15, s22, -1
	s_delay_alu instid0(SALU_CYCLE_1) | instskip(NEXT) | instid1(SALU_CYCLE_1)
	s_and_saveexec_b32 s22, s15
	s_xor_b32 s15, exec_lo, s22
	s_cbranch_execz .LBB46_10
; %bb.30:                               ;   in Loop: Header=BB46_11 Depth=1
	v_lshl_add_u32 v9, v11, 2, v24
	ds_store_b32 v9, v7
	s_branch .LBB46_10
.LBB46_31:
	s_or_b32 exec_lo, exec_lo, s2
	s_delay_alu instid0(SALU_CYCLE_1)
	s_mov_b32 s14, exec_lo
	s_wait_loadcnt_dscnt 0x0
	v_cmpx_lt_i32_e64 v18, v16
	s_cbranch_execz .LBB46_61
; %bb.32:
	v_add_nc_u32_e32 v25, 1, v22
	s_mov_b32 s15, 0
	s_branch .LBB46_35
.LBB46_33:                              ;   in Loop: Header=BB46_35 Depth=1
	s_or_b32 exec_lo, exec_lo, s22
	v_add_nc_u32_e32 v18, 1, v18
	s_delay_alu instid0(VALU_DEP_1)
	v_cmp_ge_i32_e32 vcc_lo, v18, v16
	s_or_not1_b32 s22, vcc_lo, exec_lo
.LBB46_34:                              ;   in Loop: Header=BB46_35 Depth=1
	s_or_b32 exec_lo, exec_lo, s2
	s_delay_alu instid0(SALU_CYCLE_1) | instskip(NEXT) | instid1(SALU_CYCLE_1)
	s_and_b32 s2, exec_lo, s22
	s_or_b32 s15, s2, s15
	s_delay_alu instid0(SALU_CYCLE_1)
	s_and_not1_b32 exec_lo, exec_lo, s15
	s_cbranch_execz .LBB46_61
.LBB46_35:                              ; =>This Loop Header: Depth=1
                                        ;     Child Loop BB46_36 Depth 2
                                        ;     Child Loop BB46_41 Depth 2
                                        ;       Child Loop BB46_50 Depth 3
	s_clause 0x1
	global_load_b32 v10, v18, s[6:7] scale_offset
	global_load_b128 v[6:9], v18, s[8:9] scale_offset
	v_ashrrev_i32_e32 v19, 31, v18
	s_mov_b32 s2, 0
	s_delay_alu instid0(VALU_DEP_1)
	v_lshl_add_u64 v[20:21], v[18:19], 4, s[8:9]
	s_wait_loadcnt 0x1
	v_subrev_nc_u32_e32 v10, s28, v10
	s_clause 0x1
	global_load_b32 v13, v10, s[4:5] offset:4 scale_offset
	global_load_b32 v12, v10, s[10:11] scale_offset
	v_ashrrev_i32_e32 v11, 31, v10
	s_wait_xcnt 0x0
	s_delay_alu instid0(VALU_DEP_1)
	v_lshl_add_u64 v[10:11], v[10:11], 2, s[12:13]
.LBB46_36:                              ;   Parent Loop BB46_35 Depth=1
                                        ; =>  This Inner Loop Header: Depth=2
	global_load_b32 v19, v[10:11], off scope:SCOPE_DEV
	s_wait_loadcnt 0x0
	v_cmp_ne_u32_e32 vcc_lo, 0, v19
	s_or_b32 s2, vcc_lo, s2
	s_wait_xcnt 0x0
	s_and_not1_b32 exec_lo, exec_lo, s2
	s_cbranch_execnz .LBB46_36
; %bb.37:                               ;   in Loop: Header=BB46_35 Depth=1
	s_or_b32 exec_lo, exec_lo, s2
	v_subrev_nc_u32_e32 v19, s28, v13
	v_cmp_eq_u32_e32 vcc_lo, -1, v12
	global_inv scope:SCOPE_DEV
	s_mov_b32 s22, -1
	v_add_nc_u32_e32 v10, -1, v19
	s_delay_alu instid0(VALU_DEP_1)
	v_cndmask_b32_e32 v26, v12, v10, vcc_lo
	global_load_b128 v[10:13], v26, s[8:9] scale_offset
	s_wait_loadcnt 0x0
	v_cmp_neq_f64_e32 vcc_lo, 0, v[10:11]
	v_cmp_neq_f64_e64 s2, 0, v[12:13]
	s_or_b32 s23, vcc_lo, s2
	s_wait_xcnt 0x0
	s_and_saveexec_b32 s2, s23
	s_cbranch_execz .LBB46_34
; %bb.38:                               ;   in Loop: Header=BB46_35 Depth=1
	v_mul_f64_e32 v[28:29], v[12:13], v[12:13]
	s_mov_b32 s22, exec_lo
	s_delay_alu instid0(VALU_DEP_1) | instskip(NEXT) | instid1(VALU_DEP_1)
	v_fmac_f64_e32 v[28:29], v[10:11], v[10:11]
	v_div_scale_f64 v[30:31], null, v[28:29], v[28:29], 1.0
	v_div_scale_f64 v[36:37], vcc_lo, 1.0, v[28:29], 1.0
	s_delay_alu instid0(VALU_DEP_2) | instskip(SKIP_1) | instid1(TRANS32_DEP_1)
	v_rcp_f64_e32 v[32:33], v[30:31]
	v_nop
	v_fma_f64 v[34:35], -v[30:31], v[32:33], 1.0
	s_delay_alu instid0(VALU_DEP_1) | instskip(NEXT) | instid1(VALU_DEP_1)
	v_fmac_f64_e32 v[32:33], v[32:33], v[34:35]
	v_fma_f64 v[34:35], -v[30:31], v[32:33], 1.0
	s_delay_alu instid0(VALU_DEP_1) | instskip(NEXT) | instid1(VALU_DEP_1)
	v_fmac_f64_e32 v[32:33], v[32:33], v[34:35]
	v_mul_f64_e32 v[34:35], v[36:37], v[32:33]
	s_delay_alu instid0(VALU_DEP_1) | instskip(SKIP_2) | instid1(VALU_DEP_3)
	v_fma_f64 v[30:31], -v[30:31], v[34:35], v[36:37]
	v_mul_f64_e32 v[36:37], v[8:9], v[12:13]
	v_mul_f64_e64 v[12:13], v[12:13], -v[6:7]
	v_div_fmas_f64 v[30:31], v[30:31], v[32:33], v[34:35]
	s_delay_alu instid0(VALU_DEP_3) | instskip(NEXT) | instid1(VALU_DEP_3)
	v_fmac_f64_e32 v[36:37], v[6:7], v[10:11]
	v_fmac_f64_e32 v[12:13], v[8:9], v[10:11]
	v_add_nc_u32_e32 v10, v25, v26
	s_delay_alu instid0(VALU_DEP_4) | instskip(NEXT) | instid1(VALU_DEP_1)
	v_div_fixup_f64 v[28:29], v[30:31], v[28:29], 1.0
	v_mul_f64_e32 v[6:7], v[36:37], v[28:29]
	s_delay_alu instid0(VALU_DEP_4)
	v_mul_f64_e32 v[8:9], v[12:13], v[28:29]
	global_store_b128 v[20:21], v[6:9], off
	s_wait_xcnt 0x0
	v_cmpx_lt_i32_e64 v10, v19
	s_cbranch_execz .LBB46_33
; %bb.39:                               ;   in Loop: Header=BB46_35 Depth=1
	s_mov_b32 s23, 0
	s_branch .LBB46_41
.LBB46_40:                              ;   in Loop: Header=BB46_41 Depth=2
	s_wait_xcnt 0x0
	s_or_b32 exec_lo, exec_lo, s24
	v_add_nc_u32_e32 v10, 64, v10
	s_delay_alu instid0(VALU_DEP_1) | instskip(SKIP_1) | instid1(SALU_CYCLE_1)
	v_cmp_ge_i32_e32 vcc_lo, v10, v19
	s_or_b32 s23, vcc_lo, s23
	s_and_not1_b32 exec_lo, exec_lo, s23
	s_cbranch_execz .LBB46_33
.LBB46_41:                              ;   Parent Loop BB46_35 Depth=1
                                        ; =>  This Loop Header: Depth=2
                                        ;       Child Loop BB46_50 Depth 3
	global_load_b32 v12, v10, s[6:7] scale_offset
	v_dual_ashrrev_i32 v11, 31, v10 :: v_dual_mov_b32 v13, 64
	s_mov_b32 s24, 0
                                        ; implicit-def: $sgpr25
                                        ; implicit-def: $sgpr26
                                        ; implicit-def: $sgpr27
	s_wait_loadcnt 0x0
	v_mul_lo_u32 v21, v12, 39
	s_branch .LBB46_50
.LBB46_42:                              ;   in Loop: Header=BB46_50 Depth=3
	s_or_b32 exec_lo, exec_lo, s39
	s_delay_alu instid0(SALU_CYCLE_1)
	s_or_not1_b32 s37, s37, exec_lo
	s_or_not1_b32 s38, s38, exec_lo
.LBB46_43:                              ;   in Loop: Header=BB46_50 Depth=3
	s_or_b32 exec_lo, exec_lo, s36
	s_delay_alu instid0(SALU_CYCLE_1)
	s_and_b32 s37, s37, exec_lo
	s_or_not1_b32 s36, s38, exec_lo
.LBB46_44:                              ;   in Loop: Header=BB46_50 Depth=3
	s_or_b32 exec_lo, exec_lo, s35
	s_delay_alu instid0(SALU_CYCLE_1)
	s_or_not1_b32 s35, s37, exec_lo
	s_or_not1_b32 s36, s36, exec_lo
.LBB46_45:                              ;   in Loop: Header=BB46_50 Depth=3
	s_or_b32 exec_lo, exec_lo, s34
	s_delay_alu instid0(SALU_CYCLE_1)
	s_and_b32 s35, s35, exec_lo
	s_or_not1_b32 s34, s36, exec_lo
.LBB46_46:                              ;   in Loop: Header=BB46_50 Depth=3
	s_or_b32 exec_lo, exec_lo, s33
	s_delay_alu instid0(SALU_CYCLE_1)
	s_or_not1_b32 s33, s35, exec_lo
	s_or_not1_b32 s34, s34, exec_lo
.LBB46_47:                              ;   in Loop: Header=BB46_50 Depth=3
	s_or_b32 exec_lo, exec_lo, s31
	s_delay_alu instid0(SALU_CYCLE_1)
	s_and_b32 s33, s33, exec_lo
	s_or_not1_b32 s31, s34, exec_lo
.LBB46_48:                              ;   in Loop: Header=BB46_50 Depth=3
	s_or_b32 exec_lo, exec_lo, s30
	s_delay_alu instid0(SALU_CYCLE_1)
	s_and_not1_b32 s27, s27, exec_lo
	s_and_b32 s30, s33, exec_lo
	s_and_not1_b32 s26, s26, exec_lo
	s_and_b32 s31, s31, exec_lo
	s_or_b32 s27, s27, s30
	s_or_b32 s26, s26, s31
.LBB46_49:                              ;   in Loop: Header=BB46_50 Depth=3
	s_or_b32 exec_lo, exec_lo, s29
	s_delay_alu instid0(SALU_CYCLE_1) | instskip(NEXT) | instid1(SALU_CYCLE_1)
	s_and_b32 s29, exec_lo, s26
	s_or_b32 s24, s29, s24
	s_and_not1_b32 s25, s25, exec_lo
	s_and_b32 s29, s27, exec_lo
	s_delay_alu instid0(SALU_CYCLE_1)
	s_or_b32 s25, s25, s29
	s_and_not1_b32 exec_lo, exec_lo, s24
	s_cbranch_execz .LBB46_59
.LBB46_50:                              ;   Parent Loop BB46_35 Depth=1
                                        ;     Parent Loop BB46_41 Depth=2
                                        ; =>    This Inner Loop Header: Depth=3
	s_delay_alu instid0(VALU_DEP_1) | instskip(SKIP_3) | instid1(VALU_DEP_1)
	v_and_b32_e32 v20, 63, v21
	s_or_b32 s27, s27, exec_lo
	s_or_b32 s26, s26, exec_lo
	s_mov_b32 s29, exec_lo
	v_lshl_add_u32 v26, v20, 2, v23
	ds_load_b32 v26, v26
	s_wait_dscnt 0x0
	s_wait_xcnt 0x0
	v_cmpx_ne_u32_e32 -1, v26
	s_cbranch_execz .LBB46_49
; %bb.51:                               ;   in Loop: Header=BB46_50 Depth=3
	s_mov_b32 s31, -1
	s_mov_b32 s33, 0
	s_mov_b32 s30, exec_lo
	v_cmpx_ne_u32_e64 v26, v12
	s_cbranch_execz .LBB46_48
; %bb.52:                               ;   in Loop: Header=BB46_50 Depth=3
	v_add_nc_u32_e32 v20, 1, v21
	s_mov_b32 s34, -1
	s_mov_b32 s33, -1
	s_mov_b32 s31, exec_lo
	s_delay_alu instid0(VALU_DEP_1) | instskip(NEXT) | instid1(VALU_DEP_1)
	v_and_b32_e32 v20, 63, v20
	v_lshl_add_u32 v26, v20, 2, v23
	ds_load_b32 v26, v26
	s_wait_dscnt 0x0
	v_cmpx_ne_u32_e32 -1, v26
	s_cbranch_execz .LBB46_47
; %bb.53:                               ;   in Loop: Header=BB46_50 Depth=3
	s_mov_b32 s35, 0
	s_mov_b32 s33, exec_lo
	v_cmpx_ne_u32_e64 v26, v12
	s_cbranch_execz .LBB46_46
; %bb.54:                               ;   in Loop: Header=BB46_50 Depth=3
	v_add_nc_u32_e32 v20, 2, v21
	s_mov_b32 s36, -1
	s_mov_b32 s35, -1
	s_mov_b32 s34, exec_lo
	s_delay_alu instid0(VALU_DEP_1) | instskip(NEXT) | instid1(VALU_DEP_1)
	v_and_b32_e32 v20, 63, v20
	v_lshl_add_u32 v26, v20, 2, v23
	ds_load_b32 v26, v26
	s_wait_dscnt 0x0
	v_cmpx_ne_u32_e32 -1, v26
	s_cbranch_execz .LBB46_45
; %bb.55:                               ;   in Loop: Header=BB46_50 Depth=3
	s_mov_b32 s37, 0
	s_mov_b32 s35, exec_lo
	v_cmpx_ne_u32_e64 v26, v12
	s_cbranch_execz .LBB46_44
; %bb.56:                               ;   in Loop: Header=BB46_50 Depth=3
	v_add_nc_u32_e32 v20, 3, v21
	s_mov_b32 s38, -1
	s_mov_b32 s37, -1
	s_mov_b32 s36, exec_lo
	s_delay_alu instid0(VALU_DEP_1) | instskip(NEXT) | instid1(VALU_DEP_1)
	v_and_b32_e32 v20, 63, v20
	v_lshl_add_u32 v21, v20, 2, v23
	ds_load_b32 v26, v21
                                        ; implicit-def: $vgpr21
	s_wait_dscnt 0x0
	v_cmpx_ne_u32_e32 -1, v26
	s_cbranch_execz .LBB46_43
; %bb.57:                               ;   in Loop: Header=BB46_50 Depth=3
	s_mov_b32 s37, 0
	s_mov_b32 s39, exec_lo
                                        ; implicit-def: $vgpr21
	v_cmpx_ne_u32_e64 v26, v12
	s_cbranch_execz .LBB46_42
; %bb.58:                               ;   in Loop: Header=BB46_50 Depth=3
	v_dual_add_nc_u32 v13, -4, v13 :: v_dual_add_nc_u32 v21, 1, v20
	s_mov_b32 s37, exec_lo
	s_delay_alu instid0(VALU_DEP_1)
	v_cmp_eq_u32_e32 vcc_lo, 0, v13
	s_or_not1_b32 s38, vcc_lo, exec_lo
	s_branch .LBB46_42
.LBB46_59:                              ;   in Loop: Header=BB46_41 Depth=2
	s_or_b32 exec_lo, exec_lo, s24
	s_xor_b32 s24, s25, -1
	s_delay_alu instid0(SALU_CYCLE_1) | instskip(NEXT) | instid1(SALU_CYCLE_1)
	s_and_saveexec_b32 s25, s24
	s_xor_b32 s24, exec_lo, s25
	s_cbranch_execz .LBB46_40
; %bb.60:                               ;   in Loop: Header=BB46_41 Depth=2
	v_lshl_add_u32 v12, v20, 2, v24
	ds_load_b32 v20, v12
	v_lshl_add_u64 v[12:13], v[10:11], 4, s[8:9]
	global_load_b128 v[26:29], v[12:13], off
	s_wait_dscnt 0x0
	global_load_b128 v[30:33], v20, s[8:9] scale_offset
	s_wait_loadcnt 0x0
	v_fma_f64 v[30:31], -v[6:7], v[26:27], v[30:31]
	s_wait_xcnt 0x1
	v_fma_f64 v[12:13], -v[8:9], v[26:27], v[32:33]
	s_delay_alu instid0(VALU_DEP_2) | instskip(NEXT) | instid1(VALU_DEP_2)
	v_fmac_f64_e32 v[30:31], v[8:9], v[28:29]
	v_fma_f64 v[32:33], -v[6:7], v[28:29], v[12:13]
	global_store_b128 v20, v[30:33], s[8:9] scale_offset
	s_branch .LBB46_40
.LBB46_61:
	s_or_b32 exec_lo, exec_lo, s14
	s_delay_alu instid0(SALU_CYCLE_1)
	s_mov_b32 s4, exec_lo
	s_wait_storecnt 0x0
	v_cmpx_lt_i32_e32 -1, v16
	s_cbranch_execz .LBB46_83
; %bb.62:
	global_load_b128 v[6:9], v16, s[8:9] scale_offset
	s_mov_b32 s2, exec_lo
	s_wait_loadcnt 0x0
	v_cmp_gt_f64_e32 vcc_lo, 0, v[6:7]
	v_xor_b32_e32 v11, 0x80000000, v7
	v_mov_b32_e32 v10, v6
	v_xor_b32_e32 v12, 0x80000000, v9
	s_delay_alu instid0(VALU_DEP_3) | instskip(SKIP_1) | instid1(VALU_DEP_3)
	v_dual_mov_b32 v18, v8 :: v_dual_cndmask_b32 v11, v7, v11
	v_cmp_gt_f64_e32 vcc_lo, 0, v[8:9]
	v_cndmask_b32_e32 v19, v9, v12, vcc_lo
                                        ; implicit-def: $vgpr12_vgpr13
	s_delay_alu instid0(VALU_DEP_1)
	v_cmpx_ngt_f64_e32 v[10:11], v[18:19]
	s_xor_b32 s2, exec_lo, s2
	s_cbranch_execz .LBB46_66
; %bb.63:
	v_mov_b64_e32 v[12:13], 0
	s_mov_b32 s5, exec_lo
	v_cmpx_neq_f64_e32 0, v[8:9]
	s_cbranch_execz .LBB46_65
; %bb.64:
	v_div_scale_f64 v[12:13], null, v[18:19], v[18:19], v[10:11]
	v_div_scale_f64 v[26:27], vcc_lo, v[10:11], v[18:19], v[10:11]
	s_delay_alu instid0(VALU_DEP_2) | instskip(SKIP_1) | instid1(TRANS32_DEP_1)
	v_rcp_f64_e32 v[20:21], v[12:13]
	v_nop
	v_fma_f64 v[24:25], -v[12:13], v[20:21], 1.0
	s_delay_alu instid0(VALU_DEP_1) | instskip(NEXT) | instid1(VALU_DEP_1)
	v_fmac_f64_e32 v[20:21], v[20:21], v[24:25]
	v_fma_f64 v[24:25], -v[12:13], v[20:21], 1.0
	s_delay_alu instid0(VALU_DEP_1) | instskip(NEXT) | instid1(VALU_DEP_1)
	v_fmac_f64_e32 v[20:21], v[20:21], v[24:25]
	v_mul_f64_e32 v[24:25], v[26:27], v[20:21]
	s_delay_alu instid0(VALU_DEP_1) | instskip(NEXT) | instid1(VALU_DEP_1)
	v_fma_f64 v[12:13], -v[12:13], v[24:25], v[26:27]
	v_div_fmas_f64 v[12:13], v[12:13], v[20:21], v[24:25]
	s_delay_alu instid0(VALU_DEP_1) | instskip(NEXT) | instid1(VALU_DEP_1)
	v_div_fixup_f64 v[10:11], v[12:13], v[18:19], v[10:11]
	v_fma_f64 v[10:11], v[10:11], v[10:11], 1.0
	s_delay_alu instid0(VALU_DEP_1) | instskip(SKIP_1) | instid1(VALU_DEP_1)
	v_cmp_gt_f64_e32 vcc_lo, 0x10000000, v[10:11]
	v_cndmask_b32_e64 v12, 0, 0x100, vcc_lo
	v_ldexp_f64 v[10:11], v[10:11], v12
	s_delay_alu instid0(VALU_DEP_1) | instskip(SKIP_1) | instid1(TRANS32_DEP_1)
	v_rsq_f64_e32 v[12:13], v[10:11]
	v_nop
	v_mul_f64_e32 v[20:21], v[10:11], v[12:13]
	v_mul_f64_e32 v[12:13], 0.5, v[12:13]
	s_delay_alu instid0(VALU_DEP_1) | instskip(NEXT) | instid1(VALU_DEP_1)
	v_fma_f64 v[24:25], -v[12:13], v[20:21], 0.5
	v_fmac_f64_e32 v[20:21], v[20:21], v[24:25]
	v_fmac_f64_e32 v[12:13], v[12:13], v[24:25]
	s_delay_alu instid0(VALU_DEP_2) | instskip(NEXT) | instid1(VALU_DEP_1)
	v_fma_f64 v[24:25], -v[20:21], v[20:21], v[10:11]
	v_fmac_f64_e32 v[20:21], v[24:25], v[12:13]
	s_delay_alu instid0(VALU_DEP_1) | instskip(NEXT) | instid1(VALU_DEP_1)
	v_fma_f64 v[24:25], -v[20:21], v[20:21], v[10:11]
	v_fmac_f64_e32 v[20:21], v[24:25], v[12:13]
	v_cndmask_b32_e64 v12, 0, 0xffffff80, vcc_lo
	v_cmp_class_f64_e64 vcc_lo, v[10:11], 0x260
	s_delay_alu instid0(VALU_DEP_2) | instskip(NEXT) | instid1(VALU_DEP_1)
	v_ldexp_f64 v[12:13], v[20:21], v12
	v_dual_cndmask_b32 v11, v13, v11 :: v_dual_cndmask_b32 v10, v12, v10
	s_delay_alu instid0(VALU_DEP_1)
	v_mul_f64_e32 v[12:13], v[18:19], v[10:11]
.LBB46_65:
	s_or_b32 exec_lo, exec_lo, s5
                                        ; implicit-def: $vgpr10_vgpr11
                                        ; implicit-def: $vgpr18_vgpr19
.LBB46_66:
	s_and_not1_saveexec_b32 s2, s2
	s_cbranch_execz .LBB46_68
; %bb.67:
	v_div_scale_f64 v[12:13], null, v[10:11], v[10:11], v[18:19]
	v_div_scale_f64 v[26:27], vcc_lo, v[18:19], v[10:11], v[18:19]
	s_delay_alu instid0(VALU_DEP_2) | instskip(SKIP_1) | instid1(TRANS32_DEP_1)
	v_rcp_f64_e32 v[20:21], v[12:13]
	v_nop
	v_fma_f64 v[24:25], -v[12:13], v[20:21], 1.0
	s_delay_alu instid0(VALU_DEP_1) | instskip(NEXT) | instid1(VALU_DEP_1)
	v_fmac_f64_e32 v[20:21], v[20:21], v[24:25]
	v_fma_f64 v[24:25], -v[12:13], v[20:21], 1.0
	s_delay_alu instid0(VALU_DEP_1) | instskip(NEXT) | instid1(VALU_DEP_1)
	v_fmac_f64_e32 v[20:21], v[20:21], v[24:25]
	v_mul_f64_e32 v[24:25], v[26:27], v[20:21]
	s_delay_alu instid0(VALU_DEP_1) | instskip(NEXT) | instid1(VALU_DEP_1)
	v_fma_f64 v[12:13], -v[12:13], v[24:25], v[26:27]
	v_div_fmas_f64 v[12:13], v[12:13], v[20:21], v[24:25]
	s_delay_alu instid0(VALU_DEP_1) | instskip(NEXT) | instid1(VALU_DEP_1)
	v_div_fixup_f64 v[12:13], v[12:13], v[10:11], v[18:19]
	v_fma_f64 v[12:13], v[12:13], v[12:13], 1.0
	s_delay_alu instid0(VALU_DEP_1) | instskip(SKIP_1) | instid1(VALU_DEP_1)
	v_cmp_gt_f64_e32 vcc_lo, 0x10000000, v[12:13]
	v_cndmask_b32_e64 v18, 0, 0x100, vcc_lo
	v_ldexp_f64 v[12:13], v[12:13], v18
	s_delay_alu instid0(VALU_DEP_1) | instskip(SKIP_1) | instid1(TRANS32_DEP_1)
	v_rsq_f64_e32 v[18:19], v[12:13]
	v_nop
	v_mul_f64_e32 v[20:21], v[12:13], v[18:19]
	v_mul_f64_e32 v[18:19], 0.5, v[18:19]
	s_delay_alu instid0(VALU_DEP_1) | instskip(NEXT) | instid1(VALU_DEP_1)
	v_fma_f64 v[24:25], -v[18:19], v[20:21], 0.5
	v_fmac_f64_e32 v[20:21], v[20:21], v[24:25]
	v_fmac_f64_e32 v[18:19], v[18:19], v[24:25]
	s_delay_alu instid0(VALU_DEP_2) | instskip(NEXT) | instid1(VALU_DEP_1)
	v_fma_f64 v[24:25], -v[20:21], v[20:21], v[12:13]
	v_fmac_f64_e32 v[20:21], v[24:25], v[18:19]
	s_delay_alu instid0(VALU_DEP_1) | instskip(NEXT) | instid1(VALU_DEP_1)
	v_fma_f64 v[24:25], -v[20:21], v[20:21], v[12:13]
	v_fmac_f64_e32 v[20:21], v[24:25], v[18:19]
	v_cndmask_b32_e64 v18, 0, 0xffffff80, vcc_lo
	v_cmp_class_f64_e64 vcc_lo, v[12:13], 0x260
	s_delay_alu instid0(VALU_DEP_2) | instskip(NEXT) | instid1(VALU_DEP_1)
	v_ldexp_f64 v[18:19], v[20:21], v18
	v_dual_cndmask_b32 v13, v19, v13 :: v_dual_cndmask_b32 v12, v18, v12
	s_delay_alu instid0(VALU_DEP_1)
	v_mul_f64_e32 v[12:13], v[10:11], v[12:13]
.LBB46_68:
	s_or_b32 exec_lo, exec_lo, s2
	v_cmp_ne_u32_e32 vcc_lo, 1, v17
	v_cmp_eq_u32_e64 s2, 0, v22
	s_mov_b32 s5, -1
	s_cbranch_vccnz .LBB46_72
; %bb.69:
	v_cvt_f64_f32_e32 v[10:11], s3
	s_cmp_eq_u64 s[20:21], 8
	s_cselect_b32 vcc_lo, -1, 0
	s_delay_alu instid0(VALU_DEP_1) | instskip(NEXT) | instid1(VALU_DEP_1)
	v_dual_cndmask_b32 v11, v11, v15 :: v_dual_cndmask_b32 v10, v10, v14
	v_cmp_le_f64_e32 vcc_lo, v[12:13], v[10:11]
	s_and_b32 s5, s2, vcc_lo
	s_delay_alu instid0(SALU_CYCLE_1)
	s_and_saveexec_b32 s3, s5
	s_cbranch_execz .LBB46_71
; %bb.70:
	v_mov_b32_e32 v17, 0
	s_delay_alu instid0(VALU_DEP_1)
	v_lshl_add_u64 v[10:11], v[16:17], 4, s[8:9]
	global_store_b128 v[10:11], v[2:5], off
	global_wb scope:SCOPE_DEV
	s_wait_storecnt 0x0
	global_inv scope:SCOPE_DEV
.LBB46_71:
	s_wait_xcnt 0x0
	s_or_b32 exec_lo, exec_lo, s3
	s_mov_b32 s5, 0
.LBB46_72:
	s_delay_alu instid0(SALU_CYCLE_1)
	s_and_not1_b32 vcc_lo, exec_lo, s5
	s_cbranch_vccnz .LBB46_83
; %bb.73:
	s_load_b64 s[0:1], s[0:1], 0x48
	v_add_nc_u32_e32 v2, s28, v0
	s_wait_kmcnt 0x0
	v_cmp_ge_f64_e32 vcc_lo, s[0:1], v[12:13]
	s_and_b32 s1, s2, vcc_lo
	s_delay_alu instid0(SALU_CYCLE_1)
	s_and_saveexec_b32 s0, s1
	s_cbranch_execz .LBB46_78
; %bb.74:
	s_mov_b32 s3, exec_lo
	s_brev_b32 s1, -2
.LBB46_75:                              ; =>This Inner Loop Header: Depth=1
	s_ctz_i32_b32 s5, s3
	s_delay_alu instid0(SALU_CYCLE_1) | instskip(SKIP_1) | instid1(SALU_CYCLE_1)
	v_readlane_b32 s6, v2, s5
	s_lshl_b32 s5, 1, s5
	s_and_not1_b32 s3, s3, s5
	s_min_i32 s1, s1, s6
	s_cmp_lg_u32 s3, 0
	s_cbranch_scc1 .LBB46_75
; %bb.76:
	v_mbcnt_lo_u32_b32 v3, exec_lo, 0
	s_mov_b32 s3, exec_lo
	s_delay_alu instid0(VALU_DEP_1)
	v_cmpx_eq_u32_e32 0, v3
	s_xor_b32 s3, exec_lo, s3
	s_cbranch_execz .LBB46_78
; %bb.77:
	v_dual_mov_b32 v3, 0 :: v_dual_mov_b32 v4, s1
	global_atomic_min_i32 v3, v4, s[18:19] scope:SCOPE_DEV
.LBB46_78:
	s_wait_xcnt 0x0
	s_or_b32 exec_lo, exec_lo, s0
	v_cmp_eq_f64_e32 vcc_lo, 0, v[6:7]
	v_cmp_eq_f64_e64 s0, 0, v[8:9]
	s_and_b32 s0, vcc_lo, s0
	s_delay_alu instid0(SALU_CYCLE_1) | instskip(NEXT) | instid1(SALU_CYCLE_1)
	s_and_b32 s0, s2, s0
	s_and_b32 exec_lo, exec_lo, s0
	s_cbranch_execz .LBB46_83
; %bb.79:
	s_mov_b32 s1, exec_lo
	s_brev_b32 s0, -2
.LBB46_80:                              ; =>This Inner Loop Header: Depth=1
	s_ctz_i32_b32 s2, s1
	s_delay_alu instid0(SALU_CYCLE_1) | instskip(SKIP_1) | instid1(SALU_CYCLE_1)
	v_readlane_b32 s3, v2, s2
	s_lshl_b32 s2, 1, s2
	s_and_not1_b32 s1, s1, s2
	s_min_i32 s0, s0, s3
	s_cmp_lg_u32 s1, 0
	s_cbranch_scc1 .LBB46_80
; %bb.81:
	v_mbcnt_lo_u32_b32 v2, exec_lo, 0
	s_mov_b32 s1, exec_lo
	s_delay_alu instid0(VALU_DEP_1)
	v_cmpx_eq_u32_e32 0, v2
	s_xor_b32 s1, exec_lo, s1
	s_cbranch_execz .LBB46_83
; %bb.82:
	v_dual_mov_b32 v2, 0 :: v_dual_mov_b32 v3, s0
	global_atomic_min_i32 v2, v3, s[16:17] scope:SCOPE_DEV
.LBB46_83:
	s_wait_xcnt 0x0
	s_or_b32 exec_lo, exec_lo, s4
	v_cmp_eq_u32_e32 vcc_lo, 0, v22
	global_wb scope:SCOPE_DEV
	s_wait_loadcnt 0x0
	s_wait_storecnt 0x0
	global_inv scope:SCOPE_DEV
	s_and_b32 exec_lo, exec_lo, vcc_lo
	s_cbranch_execz .LBB46_85
; %bb.84:
	v_lshl_add_u64 v[0:1], v[0:1], 2, s[12:13]
	v_mov_b32_e32 v2, 1
	global_wb scope:SCOPE_DEV
	s_wait_loadcnt 0x0
	s_wait_storecnt 0x0
	global_store_b32 v[0:1], v2, off scope:SCOPE_DEV
.LBB46_85:
	s_endpgm
	.section	.rodata,"a",@progbits
	.p2align	6, 0x0
	.amdhsa_kernel _ZN9rocsparseL12csrilu0_hashILj256ELj64ELj1E21rocsparse_complex_numIdEEEviPKiS4_PT2_S4_PiS4_S7_S7_d21rocsparse_index_base_imNS_24const_host_device_scalarIfEENS9_IdEENS9_IS5_EEb
		.amdhsa_group_segment_fixed_size 2048
		.amdhsa_private_segment_fixed_size 16
		.amdhsa_kernarg_size 132
		.amdhsa_user_sgpr_count 2
		.amdhsa_user_sgpr_dispatch_ptr 0
		.amdhsa_user_sgpr_queue_ptr 0
		.amdhsa_user_sgpr_kernarg_segment_ptr 1
		.amdhsa_user_sgpr_dispatch_id 0
		.amdhsa_user_sgpr_kernarg_preload_length 0
		.amdhsa_user_sgpr_kernarg_preload_offset 0
		.amdhsa_user_sgpr_private_segment_size 0
		.amdhsa_wavefront_size32 1
		.amdhsa_uses_dynamic_stack 0
		.amdhsa_enable_private_segment 1
		.amdhsa_system_sgpr_workgroup_id_x 1
		.amdhsa_system_sgpr_workgroup_id_y 0
		.amdhsa_system_sgpr_workgroup_id_z 0
		.amdhsa_system_sgpr_workgroup_info 0
		.amdhsa_system_vgpr_workitem_id 0
		.amdhsa_next_free_vgpr 38
		.amdhsa_next_free_sgpr 40
		.amdhsa_named_barrier_count 0
		.amdhsa_reserve_vcc 1
		.amdhsa_float_round_mode_32 0
		.amdhsa_float_round_mode_16_64 0
		.amdhsa_float_denorm_mode_32 3
		.amdhsa_float_denorm_mode_16_64 3
		.amdhsa_fp16_overflow 0
		.amdhsa_memory_ordered 1
		.amdhsa_forward_progress 1
		.amdhsa_inst_pref_size 28
		.amdhsa_round_robin_scheduling 0
		.amdhsa_exception_fp_ieee_invalid_op 0
		.amdhsa_exception_fp_denorm_src 0
		.amdhsa_exception_fp_ieee_div_zero 0
		.amdhsa_exception_fp_ieee_overflow 0
		.amdhsa_exception_fp_ieee_underflow 0
		.amdhsa_exception_fp_ieee_inexact 0
		.amdhsa_exception_int_div_zero 0
	.end_amdhsa_kernel
	.section	.text._ZN9rocsparseL12csrilu0_hashILj256ELj64ELj1E21rocsparse_complex_numIdEEEviPKiS4_PT2_S4_PiS4_S7_S7_d21rocsparse_index_base_imNS_24const_host_device_scalarIfEENS9_IdEENS9_IS5_EEb,"axG",@progbits,_ZN9rocsparseL12csrilu0_hashILj256ELj64ELj1E21rocsparse_complex_numIdEEEviPKiS4_PT2_S4_PiS4_S7_S7_d21rocsparse_index_base_imNS_24const_host_device_scalarIfEENS9_IdEENS9_IS5_EEb,comdat
.Lfunc_end46:
	.size	_ZN9rocsparseL12csrilu0_hashILj256ELj64ELj1E21rocsparse_complex_numIdEEEviPKiS4_PT2_S4_PiS4_S7_S7_d21rocsparse_index_base_imNS_24const_host_device_scalarIfEENS9_IdEENS9_IS5_EEb, .Lfunc_end46-_ZN9rocsparseL12csrilu0_hashILj256ELj64ELj1E21rocsparse_complex_numIdEEEviPKiS4_PT2_S4_PiS4_S7_S7_d21rocsparse_index_base_imNS_24const_host_device_scalarIfEENS9_IdEENS9_IS5_EEb
                                        ; -- End function
	.set _ZN9rocsparseL12csrilu0_hashILj256ELj64ELj1E21rocsparse_complex_numIdEEEviPKiS4_PT2_S4_PiS4_S7_S7_d21rocsparse_index_base_imNS_24const_host_device_scalarIfEENS9_IdEENS9_IS5_EEb.num_vgpr, 38
	.set _ZN9rocsparseL12csrilu0_hashILj256ELj64ELj1E21rocsparse_complex_numIdEEEviPKiS4_PT2_S4_PiS4_S7_S7_d21rocsparse_index_base_imNS_24const_host_device_scalarIfEENS9_IdEENS9_IS5_EEb.num_agpr, 0
	.set _ZN9rocsparseL12csrilu0_hashILj256ELj64ELj1E21rocsparse_complex_numIdEEEviPKiS4_PT2_S4_PiS4_S7_S7_d21rocsparse_index_base_imNS_24const_host_device_scalarIfEENS9_IdEENS9_IS5_EEb.numbered_sgpr, 40
	.set _ZN9rocsparseL12csrilu0_hashILj256ELj64ELj1E21rocsparse_complex_numIdEEEviPKiS4_PT2_S4_PiS4_S7_S7_d21rocsparse_index_base_imNS_24const_host_device_scalarIfEENS9_IdEENS9_IS5_EEb.num_named_barrier, 0
	.set _ZN9rocsparseL12csrilu0_hashILj256ELj64ELj1E21rocsparse_complex_numIdEEEviPKiS4_PT2_S4_PiS4_S7_S7_d21rocsparse_index_base_imNS_24const_host_device_scalarIfEENS9_IdEENS9_IS5_EEb.private_seg_size, 16
	.set _ZN9rocsparseL12csrilu0_hashILj256ELj64ELj1E21rocsparse_complex_numIdEEEviPKiS4_PT2_S4_PiS4_S7_S7_d21rocsparse_index_base_imNS_24const_host_device_scalarIfEENS9_IdEENS9_IS5_EEb.uses_vcc, 1
	.set _ZN9rocsparseL12csrilu0_hashILj256ELj64ELj1E21rocsparse_complex_numIdEEEviPKiS4_PT2_S4_PiS4_S7_S7_d21rocsparse_index_base_imNS_24const_host_device_scalarIfEENS9_IdEENS9_IS5_EEb.uses_flat_scratch, 0
	.set _ZN9rocsparseL12csrilu0_hashILj256ELj64ELj1E21rocsparse_complex_numIdEEEviPKiS4_PT2_S4_PiS4_S7_S7_d21rocsparse_index_base_imNS_24const_host_device_scalarIfEENS9_IdEENS9_IS5_EEb.has_dyn_sized_stack, 0
	.set _ZN9rocsparseL12csrilu0_hashILj256ELj64ELj1E21rocsparse_complex_numIdEEEviPKiS4_PT2_S4_PiS4_S7_S7_d21rocsparse_index_base_imNS_24const_host_device_scalarIfEENS9_IdEENS9_IS5_EEb.has_recursion, 0
	.set _ZN9rocsparseL12csrilu0_hashILj256ELj64ELj1E21rocsparse_complex_numIdEEEviPKiS4_PT2_S4_PiS4_S7_S7_d21rocsparse_index_base_imNS_24const_host_device_scalarIfEENS9_IdEENS9_IS5_EEb.has_indirect_call, 0
	.section	.AMDGPU.csdata,"",@progbits
; Kernel info:
; codeLenInByte = 3536
; TotalNumSgprs: 42
; NumVgprs: 38
; ScratchSize: 16
; MemoryBound: 0
; FloatMode: 240
; IeeeMode: 1
; LDSByteSize: 2048 bytes/workgroup (compile time only)
; SGPRBlocks: 0
; VGPRBlocks: 2
; NumSGPRsForWavesPerEU: 42
; NumVGPRsForWavesPerEU: 38
; NamedBarCnt: 0
; Occupancy: 16
; WaveLimiterHint : 1
; COMPUTE_PGM_RSRC2:SCRATCH_EN: 1
; COMPUTE_PGM_RSRC2:USER_SGPR: 2
; COMPUTE_PGM_RSRC2:TRAP_HANDLER: 0
; COMPUTE_PGM_RSRC2:TGID_X_EN: 1
; COMPUTE_PGM_RSRC2:TGID_Y_EN: 0
; COMPUTE_PGM_RSRC2:TGID_Z_EN: 0
; COMPUTE_PGM_RSRC2:TIDIG_COMP_CNT: 0
	.section	.text._ZN9rocsparseL12csrilu0_hashILj256ELj64ELj2E21rocsparse_complex_numIdEEEviPKiS4_PT2_S4_PiS4_S7_S7_d21rocsparse_index_base_imNS_24const_host_device_scalarIfEENS9_IdEENS9_IS5_EEb,"axG",@progbits,_ZN9rocsparseL12csrilu0_hashILj256ELj64ELj2E21rocsparse_complex_numIdEEEviPKiS4_PT2_S4_PiS4_S7_S7_d21rocsparse_index_base_imNS_24const_host_device_scalarIfEENS9_IdEENS9_IS5_EEb,comdat
	.globl	_ZN9rocsparseL12csrilu0_hashILj256ELj64ELj2E21rocsparse_complex_numIdEEEviPKiS4_PT2_S4_PiS4_S7_S7_d21rocsparse_index_base_imNS_24const_host_device_scalarIfEENS9_IdEENS9_IS5_EEb ; -- Begin function _ZN9rocsparseL12csrilu0_hashILj256ELj64ELj2E21rocsparse_complex_numIdEEEviPKiS4_PT2_S4_PiS4_S7_S7_d21rocsparse_index_base_imNS_24const_host_device_scalarIfEENS9_IdEENS9_IS5_EEb
	.p2align	8
	.type	_ZN9rocsparseL12csrilu0_hashILj256ELj64ELj2E21rocsparse_complex_numIdEEEviPKiS4_PT2_S4_PiS4_S7_S7_d21rocsparse_index_base_imNS_24const_host_device_scalarIfEENS9_IdEENS9_IS5_EEb,@function
_ZN9rocsparseL12csrilu0_hashILj256ELj64ELj2E21rocsparse_complex_numIdEEEviPKiS4_PT2_S4_PiS4_S7_S7_d21rocsparse_index_base_imNS_24const_host_device_scalarIfEENS9_IdEENS9_IS5_EEb: ; @_ZN9rocsparseL12csrilu0_hashILj256ELj64ELj2E21rocsparse_complex_numIdEEEviPKiS4_PT2_S4_PiS4_S7_S7_d21rocsparse_index_base_imNS_24const_host_device_scalarIfEENS9_IdEENS9_IS5_EEb
; %bb.0:
	s_clause 0x2
	s_load_b96 s[4:6], s[0:1], 0x78
	s_load_b64 s[28:29], s[0:1], 0x50
	s_load_b256 s[20:27], s[0:1], 0x58
	s_wait_kmcnt 0x0
	s_bitcmp1_b32 s6, 0
	s_cselect_b32 s2, -1, 0
	s_cmp_eq_u32 s29, 0
	v_mov_b64_e32 v[2:3], s[26:27]
	s_cselect_b32 s3, -1, 0
	s_cmp_lg_u32 s29, 0
	s_cselect_b32 s8, -1, 0
	s_or_b32 s10, s3, s2
	s_delay_alu instid0(SALU_CYCLE_1)
	s_xor_b32 s9, s10, -1
	s_and_b32 s3, s3, exec_lo
	s_cselect_b32 s7, 0, s25
	s_cselect_b32 s6, 0, s24
	;; [unrolled: 1-line block ×3, first 2 shown]
	s_and_b32 vcc_lo, exec_lo, s10
	scratch_store_b64 off, v[2:3], off
	s_cbranch_vccnz .LBB47_2
; %bb.1:
	s_load_b32 s3, s[22:23], 0x0
	s_mov_b64 s[6:7], s[24:25]
.LBB47_2:
	s_delay_alu instid0(SALU_CYCLE_1)
	v_mov_b64_e32 v[14:15], s[6:7]
	s_and_not1_b32 vcc_lo, exec_lo, s9
	s_cbranch_vccnz .LBB47_4
; %bb.3:
	v_mov_b32_e32 v1, 0
	flat_load_b64 v[14:15], v1, s[24:25]
.LBB47_4:
	v_mov_b64_e32 v[4:5], 0
	s_wait_xcnt 0x0
	v_mov_b64_e32 v[2:3], 0
	v_cndmask_b32_e64 v17, 0, 1, s8
	s_and_not1_b32 vcc_lo, exec_lo, s8
	s_cbranch_vccnz .LBB47_7
; %bb.5:
	v_mbcnt_lo_u32_b32 v1, -1, 0
	v_mov_b32_e32 v2, 0
	v_mov_b64_e32 v[4:5], s[4:5]
	s_delay_alu instid0(VALU_DEP_3) | instskip(NEXT) | instid1(VALU_DEP_1)
	v_lshlrev_b32_e32 v3, 20, v1
	v_add_nc_u64_e32 v[2:3], src_flat_scratch_base_lo, v[2:3]
	s_delay_alu instid0(VALU_DEP_1) | instskip(NEXT) | instid1(VALU_DEP_2)
	v_cndmask_b32_e64 v3, s27, v3, s2
	v_cndmask_b32_e64 v2, s26, v2, s2
	s_xor_b32 s2, s2, -1
	s_delay_alu instid0(SALU_CYCLE_1)
	s_and_not1_b32 vcc_lo, exec_lo, s2
	flat_load_b64 v[2:3], v[2:3]
	s_cbranch_vccnz .LBB47_7
; %bb.6:
	v_mov_b32_e32 v1, 0
	flat_load_b64 v[4:5], v1, s[26:27] offset:8
.LBB47_7:
	s_load_b32 s2, s[0:1], 0x0
	s_bfe_u32 s4, ttmp6, 0x4000c
	v_dual_lshlrev_b32 v1, 1, v0 :: v_dual_bitop2_b32 v22, 63, v0 bitop3:0x40
	s_add_co_i32 s4, s4, 1
	s_and_b32 s5, ttmp6, 15
	s_mul_i32 s4, ttmp9, s4
	s_getreg_b32 s6, hwreg(HW_REG_IB_STS2, 6, 4)
	s_add_co_i32 s5, s5, s4
	s_cmp_eq_u32 s6, 0
	v_and_b32_e32 v8, 0x180, v1
	v_dual_lshrrev_b32 v0, 6, v0 :: v_dual_mov_b32 v6, -1
	s_cselect_b32 s4, ttmp9, s5
	s_delay_alu instid0(SALU_CYCLE_1) | instskip(NEXT) | instid1(VALU_DEP_2)
	s_lshl_b32 s4, s4, 2
	v_lshl_or_b32 v23, v8, 2, 0x800
	s_delay_alu instid0(VALU_DEP_2) | instskip(NEXT) | instid1(VALU_DEP_2)
	v_and_or_b32 v0, 0x3fffffc, s4, v0
	v_lshl_or_b32 v1, v22, 2, v23
	s_wait_kmcnt 0x0
	s_delay_alu instid0(VALU_DEP_2)
	v_cmp_gt_i32_e32 vcc_lo, s2, v0
	ds_store_2addr_stride64_b32 v1, v6, v6 offset1:1
	s_wait_storecnt 0x0
	s_wait_loadcnt_dscnt 0x0
	s_and_saveexec_b32 s2, vcc_lo
	s_cbranch_execz .LBB47_85
; %bb.8:
	s_load_b512 s[4:19], s[0:1], 0x8
	v_lshlrev_b32_e32 v24, 2, v8
	s_mov_b32 s2, exec_lo
	s_wait_kmcnt 0x0
	global_load_b32 v0, v0, s[14:15] scale_offset
	s_wait_loadcnt 0x0
	v_ashrrev_i32_e32 v1, 31, v0
	s_delay_alu instid0(VALU_DEP_1)
	v_lshl_add_u64 v[6:7], v[0:1], 2, s[4:5]
	global_load_b64 v[10:11], v[6:7], off
	global_load_b32 v16, v0, s[10:11] scale_offset
	s_wait_loadcnt 0x1
	v_subrev_nc_u32_e32 v18, s28, v10
	v_subrev_nc_u32_e32 v6, s28, v11
	s_delay_alu instid0(VALU_DEP_2) | instskip(SKIP_1) | instid1(VALU_DEP_1)
	v_add_nc_u32_e32 v7, v18, v22
	s_wait_xcnt 0x0
	v_cmpx_lt_i32_e64 v7, v6
	s_cbranch_execz .LBB47_31
; %bb.9:
	v_mov_b32_e32 v8, -1
	s_mov_b32 s14, 0
	s_branch .LBB47_11
.LBB47_10:                              ;   in Loop: Header=BB47_11 Depth=1
	s_or_b32 exec_lo, exec_lo, s15
	v_add_nc_u32_e32 v7, 64, v7
	s_delay_alu instid0(VALU_DEP_1) | instskip(SKIP_1) | instid1(SALU_CYCLE_1)
	v_cmp_ge_i32_e32 vcc_lo, v7, v6
	s_or_b32 s14, vcc_lo, s14
	s_and_not1_b32 exec_lo, exec_lo, s14
	s_cbranch_execz .LBB47_31
.LBB47_11:                              ; =>This Loop Header: Depth=1
                                        ;     Child Loop BB47_20 Depth 2
	global_load_b32 v9, v7, s[6:7] scale_offset
	v_mov_b32_e32 v10, 0x80
	s_mov_b32 s15, 0
                                        ; implicit-def: $sgpr22
                                        ; implicit-def: $sgpr23
                                        ; implicit-def: $sgpr24
	s_wait_loadcnt 0x0
	v_mul_lo_u32 v12, 0x67, v9
	s_branch .LBB47_20
.LBB47_12:                              ;   in Loop: Header=BB47_20 Depth=2
	s_or_b32 exec_lo, exec_lo, s36
	s_delay_alu instid0(SALU_CYCLE_1)
	s_or_not1_b32 s34, s34, exec_lo
	s_or_not1_b32 s35, s35, exec_lo
.LBB47_13:                              ;   in Loop: Header=BB47_20 Depth=2
	s_or_b32 exec_lo, exec_lo, s33
	s_delay_alu instid0(SALU_CYCLE_1)
	s_and_b32 s34, s34, exec_lo
	s_or_not1_b32 s33, s35, exec_lo
.LBB47_14:                              ;   in Loop: Header=BB47_20 Depth=2
	s_or_b32 exec_lo, exec_lo, s31
	s_delay_alu instid0(SALU_CYCLE_1)
	s_or_not1_b32 s31, s34, exec_lo
	s_or_not1_b32 s33, s33, exec_lo
.LBB47_15:                              ;   in Loop: Header=BB47_20 Depth=2
	s_or_b32 exec_lo, exec_lo, s30
	s_delay_alu instid0(SALU_CYCLE_1)
	s_and_b32 s31, s31, exec_lo
	s_or_not1_b32 s30, s33, exec_lo
.LBB47_16:                              ;   in Loop: Header=BB47_20 Depth=2
	s_or_b32 exec_lo, exec_lo, s29
	s_delay_alu instid0(SALU_CYCLE_1)
	s_or_not1_b32 s29, s31, exec_lo
	s_or_not1_b32 s30, s30, exec_lo
.LBB47_17:                              ;   in Loop: Header=BB47_20 Depth=2
	s_or_b32 exec_lo, exec_lo, s27
	s_delay_alu instid0(SALU_CYCLE_1)
	s_and_b32 s29, s29, exec_lo
	s_or_not1_b32 s27, s30, exec_lo
.LBB47_18:                              ;   in Loop: Header=BB47_20 Depth=2
	s_or_b32 exec_lo, exec_lo, s26
	s_delay_alu instid0(SALU_CYCLE_1)
	s_and_not1_b32 s24, s24, exec_lo
	s_and_b32 s26, s29, exec_lo
	s_and_not1_b32 s23, s23, exec_lo
	s_and_b32 s27, s27, exec_lo
	s_or_b32 s24, s24, s26
	s_or_b32 s23, s23, s27
.LBB47_19:                              ;   in Loop: Header=BB47_20 Depth=2
	s_or_b32 exec_lo, exec_lo, s25
	s_delay_alu instid0(SALU_CYCLE_1) | instskip(NEXT) | instid1(SALU_CYCLE_1)
	s_and_b32 s25, exec_lo, s23
	s_or_b32 s15, s25, s15
	s_and_not1_b32 s22, s22, exec_lo
	s_and_b32 s25, s24, exec_lo
	s_delay_alu instid0(SALU_CYCLE_1)
	s_or_b32 s22, s22, s25
	s_and_not1_b32 exec_lo, exec_lo, s15
	s_cbranch_execz .LBB47_29
.LBB47_20:                              ;   Parent Loop BB47_11 Depth=1
                                        ; =>  This Inner Loop Header: Depth=2
	s_delay_alu instid0(VALU_DEP_1) | instskip(SKIP_3) | instid1(VALU_DEP_1)
	v_and_b32_e32 v11, 0x7f, v12
	s_or_b32 s24, s24, exec_lo
	s_or_b32 s23, s23, exec_lo
	s_mov_b32 s25, exec_lo
	v_lshl_add_u32 v13, v11, 2, v23
	ds_load_b32 v19, v13
	s_wait_dscnt 0x0
	s_wait_xcnt 0x0
	v_cmpx_ne_u32_e64 v19, v9
	s_cbranch_execz .LBB47_19
; %bb.21:                               ;   in Loop: Header=BB47_20 Depth=2
	ds_cmpstore_rtn_b32 v13, v13, v9, v8
	s_mov_b32 s27, -1
	s_mov_b32 s29, 0
	s_mov_b32 s26, exec_lo
	s_wait_dscnt 0x0
	v_cmpx_ne_u32_e32 -1, v13
	s_cbranch_execz .LBB47_18
; %bb.22:                               ;   in Loop: Header=BB47_20 Depth=2
	v_add_nc_u32_e32 v11, 1, v12
	s_mov_b32 s30, -1
	s_mov_b32 s29, -1
	s_mov_b32 s27, exec_lo
	s_delay_alu instid0(VALU_DEP_1) | instskip(NEXT) | instid1(VALU_DEP_1)
	v_and_b32_e32 v11, 0x7f, v11
	v_lshl_add_u32 v13, v11, 2, v23
	ds_load_b32 v19, v13
	s_wait_dscnt 0x0
	v_cmpx_ne_u32_e64 v19, v9
	s_cbranch_execz .LBB47_17
; %bb.23:                               ;   in Loop: Header=BB47_20 Depth=2
	ds_cmpstore_rtn_b32 v13, v13, v9, v8
	s_mov_b32 s31, 0
	s_mov_b32 s29, exec_lo
	s_wait_dscnt 0x0
	v_cmpx_ne_u32_e32 -1, v13
	s_cbranch_execz .LBB47_16
; %bb.24:                               ;   in Loop: Header=BB47_20 Depth=2
	v_add_nc_u32_e32 v11, 2, v12
	s_mov_b32 s33, -1
	s_mov_b32 s31, -1
	s_mov_b32 s30, exec_lo
	s_delay_alu instid0(VALU_DEP_1) | instskip(NEXT) | instid1(VALU_DEP_1)
	v_and_b32_e32 v11, 0x7f, v11
	v_lshl_add_u32 v13, v11, 2, v23
	ds_load_b32 v19, v13
	s_wait_dscnt 0x0
	v_cmpx_ne_u32_e64 v19, v9
	s_cbranch_execz .LBB47_15
; %bb.25:                               ;   in Loop: Header=BB47_20 Depth=2
	ds_cmpstore_rtn_b32 v13, v13, v9, v8
	s_mov_b32 s34, 0
	s_mov_b32 s31, exec_lo
	s_wait_dscnt 0x0
	v_cmpx_ne_u32_e32 -1, v13
	s_cbranch_execz .LBB47_14
; %bb.26:                               ;   in Loop: Header=BB47_20 Depth=2
	v_add_nc_u32_e32 v11, 3, v12
	s_mov_b32 s35, -1
	s_mov_b32 s34, -1
	s_delay_alu instid0(VALU_DEP_1) | instskip(NEXT) | instid1(VALU_DEP_1)
	v_and_b32_e32 v11, 0x7f, v11
	v_lshl_add_u32 v13, v11, 2, v23
	ds_load_b32 v12, v13
	s_wait_dscnt 0x0
	v_cmp_ne_u32_e32 vcc_lo, v12, v9
                                        ; implicit-def: $vgpr12
	s_and_saveexec_b32 s33, vcc_lo
	s_cbranch_execz .LBB47_13
; %bb.27:                               ;   in Loop: Header=BB47_20 Depth=2
	ds_cmpstore_rtn_b32 v12, v13, v9, v8
	s_mov_b32 s34, 0
	s_wait_dscnt 0x0
	v_cmp_ne_u32_e32 vcc_lo, -1, v12
                                        ; implicit-def: $vgpr12
	s_and_saveexec_b32 s36, vcc_lo
	s_cbranch_execz .LBB47_12
; %bb.28:                               ;   in Loop: Header=BB47_20 Depth=2
	v_dual_add_nc_u32 v10, -4, v10 :: v_dual_add_nc_u32 v12, 1, v11
	s_mov_b32 s34, exec_lo
	s_delay_alu instid0(VALU_DEP_1)
	v_cmp_eq_u32_e32 vcc_lo, 0, v10
	s_or_not1_b32 s35, vcc_lo, exec_lo
	s_branch .LBB47_12
.LBB47_29:                              ;   in Loop: Header=BB47_11 Depth=1
	s_or_b32 exec_lo, exec_lo, s15
	s_xor_b32 s15, s22, -1
	s_delay_alu instid0(SALU_CYCLE_1) | instskip(NEXT) | instid1(SALU_CYCLE_1)
	s_and_saveexec_b32 s22, s15
	s_xor_b32 s15, exec_lo, s22
	s_cbranch_execz .LBB47_10
; %bb.30:                               ;   in Loop: Header=BB47_11 Depth=1
	v_lshl_add_u32 v9, v11, 2, v24
	ds_store_b32 v9, v7
	s_branch .LBB47_10
.LBB47_31:
	s_or_b32 exec_lo, exec_lo, s2
	s_delay_alu instid0(SALU_CYCLE_1)
	s_mov_b32 s14, exec_lo
	s_wait_loadcnt_dscnt 0x0
	v_cmpx_lt_i32_e64 v18, v16
	s_cbranch_execz .LBB47_61
; %bb.32:
	v_add_nc_u32_e32 v25, 1, v22
	s_mov_b32 s15, 0
	s_branch .LBB47_35
.LBB47_33:                              ;   in Loop: Header=BB47_35 Depth=1
	s_or_b32 exec_lo, exec_lo, s22
	v_add_nc_u32_e32 v18, 1, v18
	s_delay_alu instid0(VALU_DEP_1)
	v_cmp_ge_i32_e32 vcc_lo, v18, v16
	s_or_not1_b32 s22, vcc_lo, exec_lo
.LBB47_34:                              ;   in Loop: Header=BB47_35 Depth=1
	s_or_b32 exec_lo, exec_lo, s2
	s_delay_alu instid0(SALU_CYCLE_1) | instskip(NEXT) | instid1(SALU_CYCLE_1)
	s_and_b32 s2, exec_lo, s22
	s_or_b32 s15, s2, s15
	s_delay_alu instid0(SALU_CYCLE_1)
	s_and_not1_b32 exec_lo, exec_lo, s15
	s_cbranch_execz .LBB47_61
.LBB47_35:                              ; =>This Loop Header: Depth=1
                                        ;     Child Loop BB47_36 Depth 2
                                        ;     Child Loop BB47_41 Depth 2
                                        ;       Child Loop BB47_50 Depth 3
	s_clause 0x1
	global_load_b32 v10, v18, s[6:7] scale_offset
	global_load_b128 v[6:9], v18, s[8:9] scale_offset
	v_ashrrev_i32_e32 v19, 31, v18
	s_mov_b32 s2, 0
	s_delay_alu instid0(VALU_DEP_1)
	v_lshl_add_u64 v[20:21], v[18:19], 4, s[8:9]
	s_wait_loadcnt 0x1
	v_subrev_nc_u32_e32 v10, s28, v10
	s_clause 0x1
	global_load_b32 v13, v10, s[4:5] offset:4 scale_offset
	global_load_b32 v12, v10, s[10:11] scale_offset
	v_ashrrev_i32_e32 v11, 31, v10
	s_wait_xcnt 0x0
	s_delay_alu instid0(VALU_DEP_1)
	v_lshl_add_u64 v[10:11], v[10:11], 2, s[12:13]
.LBB47_36:                              ;   Parent Loop BB47_35 Depth=1
                                        ; =>  This Inner Loop Header: Depth=2
	global_load_b32 v19, v[10:11], off scope:SCOPE_DEV
	s_wait_loadcnt 0x0
	v_cmp_ne_u32_e32 vcc_lo, 0, v19
	s_or_b32 s2, vcc_lo, s2
	s_wait_xcnt 0x0
	s_and_not1_b32 exec_lo, exec_lo, s2
	s_cbranch_execnz .LBB47_36
; %bb.37:                               ;   in Loop: Header=BB47_35 Depth=1
	s_or_b32 exec_lo, exec_lo, s2
	v_subrev_nc_u32_e32 v19, s28, v13
	v_cmp_eq_u32_e32 vcc_lo, -1, v12
	global_inv scope:SCOPE_DEV
	s_mov_b32 s22, -1
	v_add_nc_u32_e32 v10, -1, v19
	s_delay_alu instid0(VALU_DEP_1)
	v_cndmask_b32_e32 v26, v12, v10, vcc_lo
	global_load_b128 v[10:13], v26, s[8:9] scale_offset
	s_wait_loadcnt 0x0
	v_cmp_neq_f64_e32 vcc_lo, 0, v[10:11]
	v_cmp_neq_f64_e64 s2, 0, v[12:13]
	s_or_b32 s23, vcc_lo, s2
	s_wait_xcnt 0x0
	s_and_saveexec_b32 s2, s23
	s_cbranch_execz .LBB47_34
; %bb.38:                               ;   in Loop: Header=BB47_35 Depth=1
	v_mul_f64_e32 v[28:29], v[12:13], v[12:13]
	s_mov_b32 s22, exec_lo
	s_delay_alu instid0(VALU_DEP_1) | instskip(NEXT) | instid1(VALU_DEP_1)
	v_fmac_f64_e32 v[28:29], v[10:11], v[10:11]
	v_div_scale_f64 v[30:31], null, v[28:29], v[28:29], 1.0
	v_div_scale_f64 v[36:37], vcc_lo, 1.0, v[28:29], 1.0
	s_delay_alu instid0(VALU_DEP_2) | instskip(SKIP_1) | instid1(TRANS32_DEP_1)
	v_rcp_f64_e32 v[32:33], v[30:31]
	v_nop
	v_fma_f64 v[34:35], -v[30:31], v[32:33], 1.0
	s_delay_alu instid0(VALU_DEP_1) | instskip(NEXT) | instid1(VALU_DEP_1)
	v_fmac_f64_e32 v[32:33], v[32:33], v[34:35]
	v_fma_f64 v[34:35], -v[30:31], v[32:33], 1.0
	s_delay_alu instid0(VALU_DEP_1) | instskip(NEXT) | instid1(VALU_DEP_1)
	v_fmac_f64_e32 v[32:33], v[32:33], v[34:35]
	v_mul_f64_e32 v[34:35], v[36:37], v[32:33]
	s_delay_alu instid0(VALU_DEP_1) | instskip(SKIP_2) | instid1(VALU_DEP_3)
	v_fma_f64 v[30:31], -v[30:31], v[34:35], v[36:37]
	v_mul_f64_e32 v[36:37], v[8:9], v[12:13]
	v_mul_f64_e64 v[12:13], v[12:13], -v[6:7]
	v_div_fmas_f64 v[30:31], v[30:31], v[32:33], v[34:35]
	s_delay_alu instid0(VALU_DEP_3) | instskip(NEXT) | instid1(VALU_DEP_3)
	v_fmac_f64_e32 v[36:37], v[6:7], v[10:11]
	v_fmac_f64_e32 v[12:13], v[8:9], v[10:11]
	v_add_nc_u32_e32 v10, v25, v26
	s_delay_alu instid0(VALU_DEP_4) | instskip(NEXT) | instid1(VALU_DEP_1)
	v_div_fixup_f64 v[28:29], v[30:31], v[28:29], 1.0
	v_mul_f64_e32 v[6:7], v[36:37], v[28:29]
	s_delay_alu instid0(VALU_DEP_4)
	v_mul_f64_e32 v[8:9], v[12:13], v[28:29]
	global_store_b128 v[20:21], v[6:9], off
	s_wait_xcnt 0x0
	v_cmpx_lt_i32_e64 v10, v19
	s_cbranch_execz .LBB47_33
; %bb.39:                               ;   in Loop: Header=BB47_35 Depth=1
	s_mov_b32 s23, 0
	s_branch .LBB47_41
.LBB47_40:                              ;   in Loop: Header=BB47_41 Depth=2
	s_wait_xcnt 0x0
	s_or_b32 exec_lo, exec_lo, s24
	v_add_nc_u32_e32 v10, 64, v10
	s_delay_alu instid0(VALU_DEP_1) | instskip(SKIP_1) | instid1(SALU_CYCLE_1)
	v_cmp_ge_i32_e32 vcc_lo, v10, v19
	s_or_b32 s23, vcc_lo, s23
	s_and_not1_b32 exec_lo, exec_lo, s23
	s_cbranch_execz .LBB47_33
.LBB47_41:                              ;   Parent Loop BB47_35 Depth=1
                                        ; =>  This Loop Header: Depth=2
                                        ;       Child Loop BB47_50 Depth 3
	global_load_b32 v12, v10, s[6:7] scale_offset
	v_ashrrev_i32_e32 v11, 31, v10
	v_mov_b32_e32 v13, 0x80
	s_mov_b32 s24, 0
                                        ; implicit-def: $sgpr25
                                        ; implicit-def: $sgpr26
                                        ; implicit-def: $sgpr27
	s_wait_loadcnt 0x0
	v_mul_lo_u32 v21, 0x67, v12
	s_branch .LBB47_50
.LBB47_42:                              ;   in Loop: Header=BB47_50 Depth=3
	s_or_b32 exec_lo, exec_lo, s39
	s_delay_alu instid0(SALU_CYCLE_1)
	s_or_not1_b32 s37, s37, exec_lo
	s_or_not1_b32 s38, s38, exec_lo
.LBB47_43:                              ;   in Loop: Header=BB47_50 Depth=3
	s_or_b32 exec_lo, exec_lo, s36
	s_delay_alu instid0(SALU_CYCLE_1)
	s_and_b32 s37, s37, exec_lo
	s_or_not1_b32 s36, s38, exec_lo
.LBB47_44:                              ;   in Loop: Header=BB47_50 Depth=3
	s_or_b32 exec_lo, exec_lo, s35
	s_delay_alu instid0(SALU_CYCLE_1)
	s_or_not1_b32 s35, s37, exec_lo
	s_or_not1_b32 s36, s36, exec_lo
.LBB47_45:                              ;   in Loop: Header=BB47_50 Depth=3
	s_or_b32 exec_lo, exec_lo, s34
	s_delay_alu instid0(SALU_CYCLE_1)
	s_and_b32 s35, s35, exec_lo
	s_or_not1_b32 s34, s36, exec_lo
.LBB47_46:                              ;   in Loop: Header=BB47_50 Depth=3
	s_or_b32 exec_lo, exec_lo, s33
	s_delay_alu instid0(SALU_CYCLE_1)
	s_or_not1_b32 s33, s35, exec_lo
	s_or_not1_b32 s34, s34, exec_lo
.LBB47_47:                              ;   in Loop: Header=BB47_50 Depth=3
	s_or_b32 exec_lo, exec_lo, s31
	s_delay_alu instid0(SALU_CYCLE_1)
	s_and_b32 s33, s33, exec_lo
	s_or_not1_b32 s31, s34, exec_lo
.LBB47_48:                              ;   in Loop: Header=BB47_50 Depth=3
	s_or_b32 exec_lo, exec_lo, s30
	s_delay_alu instid0(SALU_CYCLE_1)
	s_and_not1_b32 s27, s27, exec_lo
	s_and_b32 s30, s33, exec_lo
	s_and_not1_b32 s26, s26, exec_lo
	s_and_b32 s31, s31, exec_lo
	s_or_b32 s27, s27, s30
	s_or_b32 s26, s26, s31
.LBB47_49:                              ;   in Loop: Header=BB47_50 Depth=3
	s_or_b32 exec_lo, exec_lo, s29
	s_delay_alu instid0(SALU_CYCLE_1) | instskip(NEXT) | instid1(SALU_CYCLE_1)
	s_and_b32 s29, exec_lo, s26
	s_or_b32 s24, s29, s24
	s_and_not1_b32 s25, s25, exec_lo
	s_and_b32 s29, s27, exec_lo
	s_delay_alu instid0(SALU_CYCLE_1)
	s_or_b32 s25, s25, s29
	s_and_not1_b32 exec_lo, exec_lo, s24
	s_cbranch_execz .LBB47_59
.LBB47_50:                              ;   Parent Loop BB47_35 Depth=1
                                        ;     Parent Loop BB47_41 Depth=2
                                        ; =>    This Inner Loop Header: Depth=3
	s_delay_alu instid0(VALU_DEP_1) | instskip(SKIP_3) | instid1(VALU_DEP_1)
	v_and_b32_e32 v20, 0x7f, v21
	s_or_b32 s27, s27, exec_lo
	s_or_b32 s26, s26, exec_lo
	s_mov_b32 s29, exec_lo
	v_lshl_add_u32 v26, v20, 2, v23
	ds_load_b32 v26, v26
	s_wait_dscnt 0x0
	s_wait_xcnt 0x0
	v_cmpx_ne_u32_e32 -1, v26
	s_cbranch_execz .LBB47_49
; %bb.51:                               ;   in Loop: Header=BB47_50 Depth=3
	s_mov_b32 s31, -1
	s_mov_b32 s33, 0
	s_mov_b32 s30, exec_lo
	v_cmpx_ne_u32_e64 v26, v12
	s_cbranch_execz .LBB47_48
; %bb.52:                               ;   in Loop: Header=BB47_50 Depth=3
	v_add_nc_u32_e32 v20, 1, v21
	s_mov_b32 s34, -1
	s_mov_b32 s33, -1
	s_mov_b32 s31, exec_lo
	s_delay_alu instid0(VALU_DEP_1) | instskip(NEXT) | instid1(VALU_DEP_1)
	v_and_b32_e32 v20, 0x7f, v20
	v_lshl_add_u32 v26, v20, 2, v23
	ds_load_b32 v26, v26
	s_wait_dscnt 0x0
	v_cmpx_ne_u32_e32 -1, v26
	s_cbranch_execz .LBB47_47
; %bb.53:                               ;   in Loop: Header=BB47_50 Depth=3
	s_mov_b32 s35, 0
	s_mov_b32 s33, exec_lo
	v_cmpx_ne_u32_e64 v26, v12
	s_cbranch_execz .LBB47_46
; %bb.54:                               ;   in Loop: Header=BB47_50 Depth=3
	v_add_nc_u32_e32 v20, 2, v21
	s_mov_b32 s36, -1
	s_mov_b32 s35, -1
	s_mov_b32 s34, exec_lo
	s_delay_alu instid0(VALU_DEP_1) | instskip(NEXT) | instid1(VALU_DEP_1)
	v_and_b32_e32 v20, 0x7f, v20
	v_lshl_add_u32 v26, v20, 2, v23
	ds_load_b32 v26, v26
	s_wait_dscnt 0x0
	v_cmpx_ne_u32_e32 -1, v26
	s_cbranch_execz .LBB47_45
; %bb.55:                               ;   in Loop: Header=BB47_50 Depth=3
	s_mov_b32 s37, 0
	s_mov_b32 s35, exec_lo
	v_cmpx_ne_u32_e64 v26, v12
	s_cbranch_execz .LBB47_44
; %bb.56:                               ;   in Loop: Header=BB47_50 Depth=3
	v_add_nc_u32_e32 v20, 3, v21
	s_mov_b32 s38, -1
	s_mov_b32 s37, -1
	s_mov_b32 s36, exec_lo
	s_delay_alu instid0(VALU_DEP_1) | instskip(NEXT) | instid1(VALU_DEP_1)
	v_and_b32_e32 v20, 0x7f, v20
	v_lshl_add_u32 v21, v20, 2, v23
	ds_load_b32 v26, v21
                                        ; implicit-def: $vgpr21
	s_wait_dscnt 0x0
	v_cmpx_ne_u32_e32 -1, v26
	s_cbranch_execz .LBB47_43
; %bb.57:                               ;   in Loop: Header=BB47_50 Depth=3
	s_mov_b32 s37, 0
	s_mov_b32 s39, exec_lo
                                        ; implicit-def: $vgpr21
	v_cmpx_ne_u32_e64 v26, v12
	s_cbranch_execz .LBB47_42
; %bb.58:                               ;   in Loop: Header=BB47_50 Depth=3
	v_dual_add_nc_u32 v13, -4, v13 :: v_dual_add_nc_u32 v21, 1, v20
	s_mov_b32 s37, exec_lo
	s_delay_alu instid0(VALU_DEP_1)
	v_cmp_eq_u32_e32 vcc_lo, 0, v13
	s_or_not1_b32 s38, vcc_lo, exec_lo
	s_branch .LBB47_42
.LBB47_59:                              ;   in Loop: Header=BB47_41 Depth=2
	s_or_b32 exec_lo, exec_lo, s24
	s_xor_b32 s24, s25, -1
	s_delay_alu instid0(SALU_CYCLE_1) | instskip(NEXT) | instid1(SALU_CYCLE_1)
	s_and_saveexec_b32 s25, s24
	s_xor_b32 s24, exec_lo, s25
	s_cbranch_execz .LBB47_40
; %bb.60:                               ;   in Loop: Header=BB47_41 Depth=2
	v_lshl_add_u32 v12, v20, 2, v24
	ds_load_b32 v20, v12
	v_lshl_add_u64 v[12:13], v[10:11], 4, s[8:9]
	global_load_b128 v[26:29], v[12:13], off
	s_wait_dscnt 0x0
	global_load_b128 v[30:33], v20, s[8:9] scale_offset
	s_wait_loadcnt 0x0
	v_fma_f64 v[30:31], -v[6:7], v[26:27], v[30:31]
	s_wait_xcnt 0x1
	v_fma_f64 v[12:13], -v[8:9], v[26:27], v[32:33]
	s_delay_alu instid0(VALU_DEP_2) | instskip(NEXT) | instid1(VALU_DEP_2)
	v_fmac_f64_e32 v[30:31], v[8:9], v[28:29]
	v_fma_f64 v[32:33], -v[6:7], v[28:29], v[12:13]
	global_store_b128 v20, v[30:33], s[8:9] scale_offset
	s_branch .LBB47_40
.LBB47_61:
	s_or_b32 exec_lo, exec_lo, s14
	s_delay_alu instid0(SALU_CYCLE_1)
	s_mov_b32 s4, exec_lo
	s_wait_storecnt 0x0
	v_cmpx_lt_i32_e32 -1, v16
	s_cbranch_execz .LBB47_83
; %bb.62:
	global_load_b128 v[6:9], v16, s[8:9] scale_offset
	s_mov_b32 s2, exec_lo
                                        ; implicit-def: $vgpr18_vgpr19
	s_wait_loadcnt 0x0
	v_cmp_gt_f64_e32 vcc_lo, 0, v[6:7]
	v_xor_b32_e32 v11, 0x80000000, v7
	v_mov_b32_e32 v10, v6
	v_xor_b32_e32 v12, 0x80000000, v9
	s_delay_alu instid0(VALU_DEP_3) | instskip(SKIP_1) | instid1(VALU_DEP_3)
	v_cndmask_b32_e32 v11, v7, v11, vcc_lo
	v_cmp_gt_f64_e32 vcc_lo, 0, v[8:9]
	v_dual_cndmask_b32 v13, v9, v12 :: v_dual_mov_b32 v12, v8
	s_delay_alu instid0(VALU_DEP_1)
	v_cmpx_ngt_f64_e32 v[10:11], v[12:13]
	s_xor_b32 s2, exec_lo, s2
	s_cbranch_execz .LBB47_66
; %bb.63:
	v_mov_b64_e32 v[18:19], 0
	s_mov_b32 s5, exec_lo
	v_cmpx_neq_f64_e32 0, v[8:9]
	s_cbranch_execz .LBB47_65
; %bb.64:
	v_div_scale_f64 v[18:19], null, v[12:13], v[12:13], v[10:11]
	v_div_scale_f64 v[26:27], vcc_lo, v[10:11], v[12:13], v[10:11]
	s_delay_alu instid0(VALU_DEP_2) | instskip(SKIP_1) | instid1(TRANS32_DEP_1)
	v_rcp_f64_e32 v[20:21], v[18:19]
	v_nop
	v_fma_f64 v[24:25], -v[18:19], v[20:21], 1.0
	s_delay_alu instid0(VALU_DEP_1) | instskip(NEXT) | instid1(VALU_DEP_1)
	v_fmac_f64_e32 v[20:21], v[20:21], v[24:25]
	v_fma_f64 v[24:25], -v[18:19], v[20:21], 1.0
	s_delay_alu instid0(VALU_DEP_1) | instskip(NEXT) | instid1(VALU_DEP_1)
	v_fmac_f64_e32 v[20:21], v[20:21], v[24:25]
	v_mul_f64_e32 v[24:25], v[26:27], v[20:21]
	s_delay_alu instid0(VALU_DEP_1) | instskip(NEXT) | instid1(VALU_DEP_1)
	v_fma_f64 v[18:19], -v[18:19], v[24:25], v[26:27]
	v_div_fmas_f64 v[18:19], v[18:19], v[20:21], v[24:25]
	s_delay_alu instid0(VALU_DEP_1) | instskip(NEXT) | instid1(VALU_DEP_1)
	v_div_fixup_f64 v[10:11], v[18:19], v[12:13], v[10:11]
	v_fma_f64 v[10:11], v[10:11], v[10:11], 1.0
	s_delay_alu instid0(VALU_DEP_1) | instskip(SKIP_1) | instid1(VALU_DEP_1)
	v_cmp_gt_f64_e32 vcc_lo, 0x10000000, v[10:11]
	v_cndmask_b32_e64 v18, 0, 0x100, vcc_lo
	v_ldexp_f64 v[10:11], v[10:11], v18
	s_delay_alu instid0(VALU_DEP_1) | instskip(SKIP_1) | instid1(TRANS32_DEP_1)
	v_rsq_f64_e32 v[18:19], v[10:11]
	v_nop
	v_mul_f64_e32 v[20:21], v[10:11], v[18:19]
	v_mul_f64_e32 v[18:19], 0.5, v[18:19]
	s_delay_alu instid0(VALU_DEP_1) | instskip(NEXT) | instid1(VALU_DEP_1)
	v_fma_f64 v[24:25], -v[18:19], v[20:21], 0.5
	v_fmac_f64_e32 v[20:21], v[20:21], v[24:25]
	v_fmac_f64_e32 v[18:19], v[18:19], v[24:25]
	s_delay_alu instid0(VALU_DEP_2) | instskip(NEXT) | instid1(VALU_DEP_1)
	v_fma_f64 v[24:25], -v[20:21], v[20:21], v[10:11]
	v_fmac_f64_e32 v[20:21], v[24:25], v[18:19]
	s_delay_alu instid0(VALU_DEP_1) | instskip(NEXT) | instid1(VALU_DEP_1)
	v_fma_f64 v[24:25], -v[20:21], v[20:21], v[10:11]
	v_fmac_f64_e32 v[20:21], v[24:25], v[18:19]
	v_cndmask_b32_e64 v18, 0, 0xffffff80, vcc_lo
	v_cmp_class_f64_e64 vcc_lo, v[10:11], 0x260
	s_delay_alu instid0(VALU_DEP_2) | instskip(NEXT) | instid1(VALU_DEP_1)
	v_ldexp_f64 v[18:19], v[20:21], v18
	v_dual_cndmask_b32 v11, v19, v11 :: v_dual_cndmask_b32 v10, v18, v10
	s_delay_alu instid0(VALU_DEP_1)
	v_mul_f64_e32 v[18:19], v[12:13], v[10:11]
.LBB47_65:
	s_or_b32 exec_lo, exec_lo, s5
                                        ; implicit-def: $vgpr10_vgpr11
                                        ; implicit-def: $vgpr12_vgpr13
.LBB47_66:
	s_and_not1_saveexec_b32 s2, s2
	s_cbranch_execz .LBB47_68
; %bb.67:
	v_div_scale_f64 v[18:19], null, v[10:11], v[10:11], v[12:13]
	v_div_scale_f64 v[26:27], vcc_lo, v[12:13], v[10:11], v[12:13]
	s_delay_alu instid0(VALU_DEP_2) | instskip(SKIP_1) | instid1(TRANS32_DEP_1)
	v_rcp_f64_e32 v[20:21], v[18:19]
	v_nop
	v_fma_f64 v[24:25], -v[18:19], v[20:21], 1.0
	s_delay_alu instid0(VALU_DEP_1) | instskip(NEXT) | instid1(VALU_DEP_1)
	v_fmac_f64_e32 v[20:21], v[20:21], v[24:25]
	v_fma_f64 v[24:25], -v[18:19], v[20:21], 1.0
	s_delay_alu instid0(VALU_DEP_1) | instskip(NEXT) | instid1(VALU_DEP_1)
	v_fmac_f64_e32 v[20:21], v[20:21], v[24:25]
	v_mul_f64_e32 v[24:25], v[26:27], v[20:21]
	s_delay_alu instid0(VALU_DEP_1) | instskip(NEXT) | instid1(VALU_DEP_1)
	v_fma_f64 v[18:19], -v[18:19], v[24:25], v[26:27]
	v_div_fmas_f64 v[18:19], v[18:19], v[20:21], v[24:25]
	s_delay_alu instid0(VALU_DEP_1) | instskip(NEXT) | instid1(VALU_DEP_1)
	v_div_fixup_f64 v[12:13], v[18:19], v[10:11], v[12:13]
	v_fma_f64 v[12:13], v[12:13], v[12:13], 1.0
	s_delay_alu instid0(VALU_DEP_1) | instskip(SKIP_1) | instid1(VALU_DEP_1)
	v_cmp_gt_f64_e32 vcc_lo, 0x10000000, v[12:13]
	v_cndmask_b32_e64 v18, 0, 0x100, vcc_lo
	v_ldexp_f64 v[12:13], v[12:13], v18
	s_delay_alu instid0(VALU_DEP_1) | instskip(SKIP_1) | instid1(TRANS32_DEP_1)
	v_rsq_f64_e32 v[18:19], v[12:13]
	v_nop
	v_mul_f64_e32 v[20:21], v[12:13], v[18:19]
	v_mul_f64_e32 v[18:19], 0.5, v[18:19]
	s_delay_alu instid0(VALU_DEP_1) | instskip(NEXT) | instid1(VALU_DEP_1)
	v_fma_f64 v[24:25], -v[18:19], v[20:21], 0.5
	v_fmac_f64_e32 v[20:21], v[20:21], v[24:25]
	v_fmac_f64_e32 v[18:19], v[18:19], v[24:25]
	s_delay_alu instid0(VALU_DEP_2) | instskip(NEXT) | instid1(VALU_DEP_1)
	v_fma_f64 v[24:25], -v[20:21], v[20:21], v[12:13]
	v_fmac_f64_e32 v[20:21], v[24:25], v[18:19]
	s_delay_alu instid0(VALU_DEP_1) | instskip(NEXT) | instid1(VALU_DEP_1)
	v_fma_f64 v[24:25], -v[20:21], v[20:21], v[12:13]
	v_fmac_f64_e32 v[20:21], v[24:25], v[18:19]
	v_cndmask_b32_e64 v18, 0, 0xffffff80, vcc_lo
	v_cmp_class_f64_e64 vcc_lo, v[12:13], 0x260
	s_delay_alu instid0(VALU_DEP_2) | instskip(NEXT) | instid1(VALU_DEP_1)
	v_ldexp_f64 v[18:19], v[20:21], v18
	v_dual_cndmask_b32 v13, v19, v13 :: v_dual_cndmask_b32 v12, v18, v12
	s_delay_alu instid0(VALU_DEP_1)
	v_mul_f64_e32 v[18:19], v[10:11], v[12:13]
.LBB47_68:
	s_or_b32 exec_lo, exec_lo, s2
	v_cmp_ne_u32_e32 vcc_lo, 1, v17
	v_cmp_eq_u32_e64 s2, 0, v22
	s_mov_b32 s5, -1
	s_cbranch_vccnz .LBB47_72
; %bb.69:
	v_cvt_f64_f32_e32 v[10:11], s3
	s_cmp_eq_u64 s[20:21], 8
	s_cselect_b32 vcc_lo, -1, 0
	s_delay_alu instid0(VALU_DEP_1) | instskip(NEXT) | instid1(VALU_DEP_1)
	v_dual_cndmask_b32 v11, v11, v15 :: v_dual_cndmask_b32 v10, v10, v14
	v_cmp_le_f64_e32 vcc_lo, v[18:19], v[10:11]
	s_and_b32 s5, s2, vcc_lo
	s_delay_alu instid0(SALU_CYCLE_1)
	s_and_saveexec_b32 s3, s5
	s_cbranch_execz .LBB47_71
; %bb.70:
	v_mov_b32_e32 v17, 0
	s_delay_alu instid0(VALU_DEP_1)
	v_lshl_add_u64 v[10:11], v[16:17], 4, s[8:9]
	global_store_b128 v[10:11], v[2:5], off
	global_wb scope:SCOPE_DEV
	s_wait_storecnt 0x0
	global_inv scope:SCOPE_DEV
.LBB47_71:
	s_wait_xcnt 0x0
	s_or_b32 exec_lo, exec_lo, s3
	s_mov_b32 s5, 0
.LBB47_72:
	s_delay_alu instid0(SALU_CYCLE_1)
	s_and_not1_b32 vcc_lo, exec_lo, s5
	s_cbranch_vccnz .LBB47_83
; %bb.73:
	s_load_b64 s[0:1], s[0:1], 0x48
	v_add_nc_u32_e32 v2, s28, v0
	s_wait_kmcnt 0x0
	v_cmp_ge_f64_e32 vcc_lo, s[0:1], v[18:19]
	s_and_b32 s1, s2, vcc_lo
	s_delay_alu instid0(SALU_CYCLE_1)
	s_and_saveexec_b32 s0, s1
	s_cbranch_execz .LBB47_78
; %bb.74:
	s_mov_b32 s3, exec_lo
	s_brev_b32 s1, -2
.LBB47_75:                              ; =>This Inner Loop Header: Depth=1
	s_ctz_i32_b32 s5, s3
	s_delay_alu instid0(SALU_CYCLE_1) | instskip(SKIP_1) | instid1(SALU_CYCLE_1)
	v_readlane_b32 s6, v2, s5
	s_lshl_b32 s5, 1, s5
	s_and_not1_b32 s3, s3, s5
	s_min_i32 s1, s1, s6
	s_cmp_lg_u32 s3, 0
	s_cbranch_scc1 .LBB47_75
; %bb.76:
	v_mbcnt_lo_u32_b32 v3, exec_lo, 0
	s_mov_b32 s3, exec_lo
	s_delay_alu instid0(VALU_DEP_1)
	v_cmpx_eq_u32_e32 0, v3
	s_xor_b32 s3, exec_lo, s3
	s_cbranch_execz .LBB47_78
; %bb.77:
	v_dual_mov_b32 v3, 0 :: v_dual_mov_b32 v4, s1
	global_atomic_min_i32 v3, v4, s[18:19] scope:SCOPE_DEV
.LBB47_78:
	s_wait_xcnt 0x0
	s_or_b32 exec_lo, exec_lo, s0
	v_cmp_eq_f64_e32 vcc_lo, 0, v[6:7]
	v_cmp_eq_f64_e64 s0, 0, v[8:9]
	s_and_b32 s0, vcc_lo, s0
	s_delay_alu instid0(SALU_CYCLE_1) | instskip(NEXT) | instid1(SALU_CYCLE_1)
	s_and_b32 s0, s2, s0
	s_and_b32 exec_lo, exec_lo, s0
	s_cbranch_execz .LBB47_83
; %bb.79:
	s_mov_b32 s1, exec_lo
	s_brev_b32 s0, -2
.LBB47_80:                              ; =>This Inner Loop Header: Depth=1
	s_ctz_i32_b32 s2, s1
	s_delay_alu instid0(SALU_CYCLE_1) | instskip(SKIP_1) | instid1(SALU_CYCLE_1)
	v_readlane_b32 s3, v2, s2
	s_lshl_b32 s2, 1, s2
	s_and_not1_b32 s1, s1, s2
	s_min_i32 s0, s0, s3
	s_cmp_lg_u32 s1, 0
	s_cbranch_scc1 .LBB47_80
; %bb.81:
	v_mbcnt_lo_u32_b32 v2, exec_lo, 0
	s_mov_b32 s1, exec_lo
	s_delay_alu instid0(VALU_DEP_1)
	v_cmpx_eq_u32_e32 0, v2
	s_xor_b32 s1, exec_lo, s1
	s_cbranch_execz .LBB47_83
; %bb.82:
	v_dual_mov_b32 v2, 0 :: v_dual_mov_b32 v3, s0
	global_atomic_min_i32 v2, v3, s[16:17] scope:SCOPE_DEV
.LBB47_83:
	s_wait_xcnt 0x0
	s_or_b32 exec_lo, exec_lo, s4
	v_cmp_eq_u32_e32 vcc_lo, 0, v22
	global_wb scope:SCOPE_DEV
	s_wait_loadcnt 0x0
	s_wait_storecnt 0x0
	global_inv scope:SCOPE_DEV
	s_and_b32 exec_lo, exec_lo, vcc_lo
	s_cbranch_execz .LBB47_85
; %bb.84:
	v_lshl_add_u64 v[0:1], v[0:1], 2, s[12:13]
	v_mov_b32_e32 v2, 1
	global_wb scope:SCOPE_DEV
	s_wait_loadcnt 0x0
	s_wait_storecnt 0x0
	global_store_b32 v[0:1], v2, off scope:SCOPE_DEV
.LBB47_85:
	s_endpgm
	.section	.rodata,"a",@progbits
	.p2align	6, 0x0
	.amdhsa_kernel _ZN9rocsparseL12csrilu0_hashILj256ELj64ELj2E21rocsparse_complex_numIdEEEviPKiS4_PT2_S4_PiS4_S7_S7_d21rocsparse_index_base_imNS_24const_host_device_scalarIfEENS9_IdEENS9_IS5_EEb
		.amdhsa_group_segment_fixed_size 4096
		.amdhsa_private_segment_fixed_size 16
		.amdhsa_kernarg_size 132
		.amdhsa_user_sgpr_count 2
		.amdhsa_user_sgpr_dispatch_ptr 0
		.amdhsa_user_sgpr_queue_ptr 0
		.amdhsa_user_sgpr_kernarg_segment_ptr 1
		.amdhsa_user_sgpr_dispatch_id 0
		.amdhsa_user_sgpr_kernarg_preload_length 0
		.amdhsa_user_sgpr_kernarg_preload_offset 0
		.amdhsa_user_sgpr_private_segment_size 0
		.amdhsa_wavefront_size32 1
		.amdhsa_uses_dynamic_stack 0
		.amdhsa_enable_private_segment 1
		.amdhsa_system_sgpr_workgroup_id_x 1
		.amdhsa_system_sgpr_workgroup_id_y 0
		.amdhsa_system_sgpr_workgroup_id_z 0
		.amdhsa_system_sgpr_workgroup_info 0
		.amdhsa_system_vgpr_workitem_id 0
		.amdhsa_next_free_vgpr 38
		.amdhsa_next_free_sgpr 40
		.amdhsa_named_barrier_count 0
		.amdhsa_reserve_vcc 1
		.amdhsa_float_round_mode_32 0
		.amdhsa_float_round_mode_16_64 0
		.amdhsa_float_denorm_mode_32 3
		.amdhsa_float_denorm_mode_16_64 3
		.amdhsa_fp16_overflow 0
		.amdhsa_memory_ordered 1
		.amdhsa_forward_progress 1
		.amdhsa_inst_pref_size 29
		.amdhsa_round_robin_scheduling 0
		.amdhsa_exception_fp_ieee_invalid_op 0
		.amdhsa_exception_fp_denorm_src 0
		.amdhsa_exception_fp_ieee_div_zero 0
		.amdhsa_exception_fp_ieee_overflow 0
		.amdhsa_exception_fp_ieee_underflow 0
		.amdhsa_exception_fp_ieee_inexact 0
		.amdhsa_exception_int_div_zero 0
	.end_amdhsa_kernel
	.section	.text._ZN9rocsparseL12csrilu0_hashILj256ELj64ELj2E21rocsparse_complex_numIdEEEviPKiS4_PT2_S4_PiS4_S7_S7_d21rocsparse_index_base_imNS_24const_host_device_scalarIfEENS9_IdEENS9_IS5_EEb,"axG",@progbits,_ZN9rocsparseL12csrilu0_hashILj256ELj64ELj2E21rocsparse_complex_numIdEEEviPKiS4_PT2_S4_PiS4_S7_S7_d21rocsparse_index_base_imNS_24const_host_device_scalarIfEENS9_IdEENS9_IS5_EEb,comdat
.Lfunc_end47:
	.size	_ZN9rocsparseL12csrilu0_hashILj256ELj64ELj2E21rocsparse_complex_numIdEEEviPKiS4_PT2_S4_PiS4_S7_S7_d21rocsparse_index_base_imNS_24const_host_device_scalarIfEENS9_IdEENS9_IS5_EEb, .Lfunc_end47-_ZN9rocsparseL12csrilu0_hashILj256ELj64ELj2E21rocsparse_complex_numIdEEEviPKiS4_PT2_S4_PiS4_S7_S7_d21rocsparse_index_base_imNS_24const_host_device_scalarIfEENS9_IdEENS9_IS5_EEb
                                        ; -- End function
	.set _ZN9rocsparseL12csrilu0_hashILj256ELj64ELj2E21rocsparse_complex_numIdEEEviPKiS4_PT2_S4_PiS4_S7_S7_d21rocsparse_index_base_imNS_24const_host_device_scalarIfEENS9_IdEENS9_IS5_EEb.num_vgpr, 38
	.set _ZN9rocsparseL12csrilu0_hashILj256ELj64ELj2E21rocsparse_complex_numIdEEEviPKiS4_PT2_S4_PiS4_S7_S7_d21rocsparse_index_base_imNS_24const_host_device_scalarIfEENS9_IdEENS9_IS5_EEb.num_agpr, 0
	.set _ZN9rocsparseL12csrilu0_hashILj256ELj64ELj2E21rocsparse_complex_numIdEEEviPKiS4_PT2_S4_PiS4_S7_S7_d21rocsparse_index_base_imNS_24const_host_device_scalarIfEENS9_IdEENS9_IS5_EEb.numbered_sgpr, 40
	.set _ZN9rocsparseL12csrilu0_hashILj256ELj64ELj2E21rocsparse_complex_numIdEEEviPKiS4_PT2_S4_PiS4_S7_S7_d21rocsparse_index_base_imNS_24const_host_device_scalarIfEENS9_IdEENS9_IS5_EEb.num_named_barrier, 0
	.set _ZN9rocsparseL12csrilu0_hashILj256ELj64ELj2E21rocsparse_complex_numIdEEEviPKiS4_PT2_S4_PiS4_S7_S7_d21rocsparse_index_base_imNS_24const_host_device_scalarIfEENS9_IdEENS9_IS5_EEb.private_seg_size, 16
	.set _ZN9rocsparseL12csrilu0_hashILj256ELj64ELj2E21rocsparse_complex_numIdEEEviPKiS4_PT2_S4_PiS4_S7_S7_d21rocsparse_index_base_imNS_24const_host_device_scalarIfEENS9_IdEENS9_IS5_EEb.uses_vcc, 1
	.set _ZN9rocsparseL12csrilu0_hashILj256ELj64ELj2E21rocsparse_complex_numIdEEEviPKiS4_PT2_S4_PiS4_S7_S7_d21rocsparse_index_base_imNS_24const_host_device_scalarIfEENS9_IdEENS9_IS5_EEb.uses_flat_scratch, 0
	.set _ZN9rocsparseL12csrilu0_hashILj256ELj64ELj2E21rocsparse_complex_numIdEEEviPKiS4_PT2_S4_PiS4_S7_S7_d21rocsparse_index_base_imNS_24const_host_device_scalarIfEENS9_IdEENS9_IS5_EEb.has_dyn_sized_stack, 0
	.set _ZN9rocsparseL12csrilu0_hashILj256ELj64ELj2E21rocsparse_complex_numIdEEEviPKiS4_PT2_S4_PiS4_S7_S7_d21rocsparse_index_base_imNS_24const_host_device_scalarIfEENS9_IdEENS9_IS5_EEb.has_recursion, 0
	.set _ZN9rocsparseL12csrilu0_hashILj256ELj64ELj2E21rocsparse_complex_numIdEEEviPKiS4_PT2_S4_PiS4_S7_S7_d21rocsparse_index_base_imNS_24const_host_device_scalarIfEENS9_IdEENS9_IS5_EEb.has_indirect_call, 0
	.section	.AMDGPU.csdata,"",@progbits
; Kernel info:
; codeLenInByte = 3600
; TotalNumSgprs: 42
; NumVgprs: 38
; ScratchSize: 16
; MemoryBound: 0
; FloatMode: 240
; IeeeMode: 1
; LDSByteSize: 4096 bytes/workgroup (compile time only)
; SGPRBlocks: 0
; VGPRBlocks: 2
; NumSGPRsForWavesPerEU: 42
; NumVGPRsForWavesPerEU: 38
; NamedBarCnt: 0
; Occupancy: 16
; WaveLimiterHint : 1
; COMPUTE_PGM_RSRC2:SCRATCH_EN: 1
; COMPUTE_PGM_RSRC2:USER_SGPR: 2
; COMPUTE_PGM_RSRC2:TRAP_HANDLER: 0
; COMPUTE_PGM_RSRC2:TGID_X_EN: 1
; COMPUTE_PGM_RSRC2:TGID_Y_EN: 0
; COMPUTE_PGM_RSRC2:TGID_Z_EN: 0
; COMPUTE_PGM_RSRC2:TIDIG_COMP_CNT: 0
	.section	.text._ZN9rocsparseL12csrilu0_hashILj256ELj64ELj4E21rocsparse_complex_numIdEEEviPKiS4_PT2_S4_PiS4_S7_S7_d21rocsparse_index_base_imNS_24const_host_device_scalarIfEENS9_IdEENS9_IS5_EEb,"axG",@progbits,_ZN9rocsparseL12csrilu0_hashILj256ELj64ELj4E21rocsparse_complex_numIdEEEviPKiS4_PT2_S4_PiS4_S7_S7_d21rocsparse_index_base_imNS_24const_host_device_scalarIfEENS9_IdEENS9_IS5_EEb,comdat
	.globl	_ZN9rocsparseL12csrilu0_hashILj256ELj64ELj4E21rocsparse_complex_numIdEEEviPKiS4_PT2_S4_PiS4_S7_S7_d21rocsparse_index_base_imNS_24const_host_device_scalarIfEENS9_IdEENS9_IS5_EEb ; -- Begin function _ZN9rocsparseL12csrilu0_hashILj256ELj64ELj4E21rocsparse_complex_numIdEEEviPKiS4_PT2_S4_PiS4_S7_S7_d21rocsparse_index_base_imNS_24const_host_device_scalarIfEENS9_IdEENS9_IS5_EEb
	.p2align	8
	.type	_ZN9rocsparseL12csrilu0_hashILj256ELj64ELj4E21rocsparse_complex_numIdEEEviPKiS4_PT2_S4_PiS4_S7_S7_d21rocsparse_index_base_imNS_24const_host_device_scalarIfEENS9_IdEENS9_IS5_EEb,@function
_ZN9rocsparseL12csrilu0_hashILj256ELj64ELj4E21rocsparse_complex_numIdEEEviPKiS4_PT2_S4_PiS4_S7_S7_d21rocsparse_index_base_imNS_24const_host_device_scalarIfEENS9_IdEENS9_IS5_EEb: ; @_ZN9rocsparseL12csrilu0_hashILj256ELj64ELj4E21rocsparse_complex_numIdEEEviPKiS4_PT2_S4_PiS4_S7_S7_d21rocsparse_index_base_imNS_24const_host_device_scalarIfEENS9_IdEENS9_IS5_EEb
; %bb.0:
	s_clause 0x2
	s_load_b96 s[4:6], s[0:1], 0x78
	s_load_b64 s[28:29], s[0:1], 0x50
	s_load_b256 s[20:27], s[0:1], 0x58
	s_wait_kmcnt 0x0
	s_bitcmp1_b32 s6, 0
	s_cselect_b32 s2, -1, 0
	s_cmp_eq_u32 s29, 0
	v_mov_b64_e32 v[2:3], s[26:27]
	s_cselect_b32 s3, -1, 0
	s_cmp_lg_u32 s29, 0
	s_cselect_b32 s8, -1, 0
	s_or_b32 s10, s3, s2
	s_delay_alu instid0(SALU_CYCLE_1)
	s_xor_b32 s9, s10, -1
	s_and_b32 s3, s3, exec_lo
	s_cselect_b32 s7, 0, s25
	s_cselect_b32 s6, 0, s24
	s_cselect_b32 s3, 0, s22
	s_and_b32 vcc_lo, exec_lo, s10
	scratch_store_b64 off, v[2:3], off
	s_cbranch_vccnz .LBB48_2
; %bb.1:
	s_load_b32 s3, s[22:23], 0x0
	s_mov_b64 s[6:7], s[24:25]
.LBB48_2:
	s_delay_alu instid0(SALU_CYCLE_1)
	v_mov_b64_e32 v[14:15], s[6:7]
	s_and_not1_b32 vcc_lo, exec_lo, s9
	s_cbranch_vccnz .LBB48_4
; %bb.3:
	v_mov_b32_e32 v1, 0
	flat_load_b64 v[14:15], v1, s[24:25]
.LBB48_4:
	v_mov_b64_e32 v[4:5], 0
	s_wait_xcnt 0x0
	v_mov_b64_e32 v[2:3], 0
	v_cndmask_b32_e64 v17, 0, 1, s8
	s_and_not1_b32 vcc_lo, exec_lo, s8
	s_cbranch_vccnz .LBB48_7
; %bb.5:
	v_mbcnt_lo_u32_b32 v1, -1, 0
	v_mov_b32_e32 v2, 0
	v_mov_b64_e32 v[4:5], s[4:5]
	s_delay_alu instid0(VALU_DEP_3) | instskip(NEXT) | instid1(VALU_DEP_1)
	v_lshlrev_b32_e32 v3, 20, v1
	v_add_nc_u64_e32 v[2:3], src_flat_scratch_base_lo, v[2:3]
	s_delay_alu instid0(VALU_DEP_1) | instskip(NEXT) | instid1(VALU_DEP_2)
	v_cndmask_b32_e64 v3, s27, v3, s2
	v_cndmask_b32_e64 v2, s26, v2, s2
	s_xor_b32 s2, s2, -1
	s_delay_alu instid0(SALU_CYCLE_1)
	s_and_not1_b32 vcc_lo, exec_lo, s2
	flat_load_b64 v[2:3], v[2:3]
	s_cbranch_vccnz .LBB48_7
; %bb.6:
	v_mov_b32_e32 v1, 0
	flat_load_b64 v[4:5], v1, s[26:27] offset:8
.LBB48_7:
	s_load_b32 s2, s[0:1], 0x0
	s_bfe_u32 s4, ttmp6, 0x4000c
	v_dual_lshlrev_b32 v1, 2, v0 :: v_dual_bitop2_b32 v22, 63, v0 bitop3:0x40
	s_add_co_i32 s4, s4, 1
	s_and_b32 s5, ttmp6, 15
	s_mul_i32 s4, ttmp9, s4
	s_getreg_b32 s6, hwreg(HW_REG_IB_STS2, 6, 4)
	s_add_co_i32 s5, s5, s4
	s_cmp_eq_u32 s6, 0
	v_and_b32_e32 v8, 0x300, v1
	v_dual_lshrrev_b32 v0, 6, v0 :: v_dual_mov_b32 v6, -1
	s_cselect_b32 s4, ttmp9, s5
	s_delay_alu instid0(SALU_CYCLE_1) | instskip(NEXT) | instid1(VALU_DEP_2)
	s_lshl_b32 s4, s4, 2
	v_lshl_or_b32 v23, v8, 2, 0x1000
	s_delay_alu instid0(VALU_DEP_2) | instskip(NEXT) | instid1(VALU_DEP_2)
	v_and_or_b32 v0, 0x3fffffc, s4, v0
	v_lshl_or_b32 v1, v22, 2, v23
	s_wait_kmcnt 0x0
	s_delay_alu instid0(VALU_DEP_2)
	v_cmp_gt_i32_e32 vcc_lo, s2, v0
	ds_store_2addr_stride64_b32 v1, v6, v6 offset1:1
	ds_store_2addr_stride64_b32 v1, v6, v6 offset0:2 offset1:3
	s_wait_storecnt 0x0
	s_wait_loadcnt_dscnt 0x0
	s_and_saveexec_b32 s2, vcc_lo
	s_cbranch_execz .LBB48_85
; %bb.8:
	s_load_b512 s[4:19], s[0:1], 0x8
	v_lshlrev_b32_e32 v24, 2, v8
	s_mov_b32 s2, exec_lo
	s_wait_kmcnt 0x0
	global_load_b32 v0, v0, s[14:15] scale_offset
	s_wait_loadcnt 0x0
	v_ashrrev_i32_e32 v1, 31, v0
	s_delay_alu instid0(VALU_DEP_1)
	v_lshl_add_u64 v[6:7], v[0:1], 2, s[4:5]
	global_load_b64 v[10:11], v[6:7], off
	global_load_b32 v16, v0, s[10:11] scale_offset
	s_wait_loadcnt 0x1
	v_subrev_nc_u32_e32 v18, s28, v10
	v_subrev_nc_u32_e32 v6, s28, v11
	s_delay_alu instid0(VALU_DEP_2) | instskip(SKIP_1) | instid1(VALU_DEP_1)
	v_add_nc_u32_e32 v7, v18, v22
	s_wait_xcnt 0x0
	v_cmpx_lt_i32_e64 v7, v6
	s_cbranch_execz .LBB48_31
; %bb.9:
	v_mov_b32_e32 v8, -1
	s_mov_b32 s14, 0
	s_branch .LBB48_11
.LBB48_10:                              ;   in Loop: Header=BB48_11 Depth=1
	s_or_b32 exec_lo, exec_lo, s15
	v_add_nc_u32_e32 v7, 64, v7
	s_delay_alu instid0(VALU_DEP_1) | instskip(SKIP_1) | instid1(SALU_CYCLE_1)
	v_cmp_ge_i32_e32 vcc_lo, v7, v6
	s_or_b32 s14, vcc_lo, s14
	s_and_not1_b32 exec_lo, exec_lo, s14
	s_cbranch_execz .LBB48_31
.LBB48_11:                              ; =>This Loop Header: Depth=1
                                        ;     Child Loop BB48_20 Depth 2
	global_load_b32 v9, v7, s[6:7] scale_offset
	v_mov_b32_e32 v10, 0x100
	s_mov_b32 s15, 0
                                        ; implicit-def: $sgpr22
                                        ; implicit-def: $sgpr23
                                        ; implicit-def: $sgpr24
	s_wait_loadcnt 0x0
	v_mul_lo_u32 v12, 0x67, v9
	s_branch .LBB48_20
.LBB48_12:                              ;   in Loop: Header=BB48_20 Depth=2
	s_or_b32 exec_lo, exec_lo, s36
	s_delay_alu instid0(SALU_CYCLE_1)
	s_or_not1_b32 s34, s34, exec_lo
	s_or_not1_b32 s35, s35, exec_lo
.LBB48_13:                              ;   in Loop: Header=BB48_20 Depth=2
	s_or_b32 exec_lo, exec_lo, s33
	s_delay_alu instid0(SALU_CYCLE_1)
	s_and_b32 s34, s34, exec_lo
	s_or_not1_b32 s33, s35, exec_lo
.LBB48_14:                              ;   in Loop: Header=BB48_20 Depth=2
	s_or_b32 exec_lo, exec_lo, s31
	s_delay_alu instid0(SALU_CYCLE_1)
	s_or_not1_b32 s31, s34, exec_lo
	s_or_not1_b32 s33, s33, exec_lo
.LBB48_15:                              ;   in Loop: Header=BB48_20 Depth=2
	s_or_b32 exec_lo, exec_lo, s30
	s_delay_alu instid0(SALU_CYCLE_1)
	s_and_b32 s31, s31, exec_lo
	s_or_not1_b32 s30, s33, exec_lo
.LBB48_16:                              ;   in Loop: Header=BB48_20 Depth=2
	s_or_b32 exec_lo, exec_lo, s29
	s_delay_alu instid0(SALU_CYCLE_1)
	s_or_not1_b32 s29, s31, exec_lo
	s_or_not1_b32 s30, s30, exec_lo
.LBB48_17:                              ;   in Loop: Header=BB48_20 Depth=2
	s_or_b32 exec_lo, exec_lo, s27
	s_delay_alu instid0(SALU_CYCLE_1)
	s_and_b32 s29, s29, exec_lo
	s_or_not1_b32 s27, s30, exec_lo
.LBB48_18:                              ;   in Loop: Header=BB48_20 Depth=2
	s_or_b32 exec_lo, exec_lo, s26
	s_delay_alu instid0(SALU_CYCLE_1)
	s_and_not1_b32 s24, s24, exec_lo
	s_and_b32 s26, s29, exec_lo
	s_and_not1_b32 s23, s23, exec_lo
	s_and_b32 s27, s27, exec_lo
	s_or_b32 s24, s24, s26
	s_or_b32 s23, s23, s27
.LBB48_19:                              ;   in Loop: Header=BB48_20 Depth=2
	s_or_b32 exec_lo, exec_lo, s25
	s_delay_alu instid0(SALU_CYCLE_1) | instskip(NEXT) | instid1(SALU_CYCLE_1)
	s_and_b32 s25, exec_lo, s23
	s_or_b32 s15, s25, s15
	s_and_not1_b32 s22, s22, exec_lo
	s_and_b32 s25, s24, exec_lo
	s_delay_alu instid0(SALU_CYCLE_1)
	s_or_b32 s22, s22, s25
	s_and_not1_b32 exec_lo, exec_lo, s15
	s_cbranch_execz .LBB48_29
.LBB48_20:                              ;   Parent Loop BB48_11 Depth=1
                                        ; =>  This Inner Loop Header: Depth=2
	s_delay_alu instid0(VALU_DEP_1) | instskip(SKIP_3) | instid1(VALU_DEP_1)
	v_and_b32_e32 v11, 0xff, v12
	s_or_b32 s24, s24, exec_lo
	s_or_b32 s23, s23, exec_lo
	s_mov_b32 s25, exec_lo
	v_lshl_add_u32 v13, v11, 2, v23
	ds_load_b32 v19, v13
	s_wait_dscnt 0x0
	s_wait_xcnt 0x0
	v_cmpx_ne_u32_e64 v19, v9
	s_cbranch_execz .LBB48_19
; %bb.21:                               ;   in Loop: Header=BB48_20 Depth=2
	ds_cmpstore_rtn_b32 v13, v13, v9, v8
	s_mov_b32 s27, -1
	s_mov_b32 s29, 0
	s_mov_b32 s26, exec_lo
	s_wait_dscnt 0x0
	v_cmpx_ne_u32_e32 -1, v13
	s_cbranch_execz .LBB48_18
; %bb.22:                               ;   in Loop: Header=BB48_20 Depth=2
	v_add_nc_u32_e32 v11, 1, v12
	s_mov_b32 s30, -1
	s_mov_b32 s29, -1
	s_mov_b32 s27, exec_lo
	s_delay_alu instid0(VALU_DEP_1) | instskip(NEXT) | instid1(VALU_DEP_1)
	v_and_b32_e32 v11, 0xff, v11
	v_lshl_add_u32 v13, v11, 2, v23
	ds_load_b32 v19, v13
	s_wait_dscnt 0x0
	v_cmpx_ne_u32_e64 v19, v9
	s_cbranch_execz .LBB48_17
; %bb.23:                               ;   in Loop: Header=BB48_20 Depth=2
	ds_cmpstore_rtn_b32 v13, v13, v9, v8
	s_mov_b32 s31, 0
	s_mov_b32 s29, exec_lo
	s_wait_dscnt 0x0
	v_cmpx_ne_u32_e32 -1, v13
	s_cbranch_execz .LBB48_16
; %bb.24:                               ;   in Loop: Header=BB48_20 Depth=2
	v_add_nc_u32_e32 v11, 2, v12
	s_mov_b32 s33, -1
	s_mov_b32 s31, -1
	s_mov_b32 s30, exec_lo
	s_delay_alu instid0(VALU_DEP_1) | instskip(NEXT) | instid1(VALU_DEP_1)
	v_and_b32_e32 v11, 0xff, v11
	v_lshl_add_u32 v13, v11, 2, v23
	ds_load_b32 v19, v13
	s_wait_dscnt 0x0
	v_cmpx_ne_u32_e64 v19, v9
	s_cbranch_execz .LBB48_15
; %bb.25:                               ;   in Loop: Header=BB48_20 Depth=2
	ds_cmpstore_rtn_b32 v13, v13, v9, v8
	s_mov_b32 s34, 0
	s_mov_b32 s31, exec_lo
	s_wait_dscnt 0x0
	v_cmpx_ne_u32_e32 -1, v13
	s_cbranch_execz .LBB48_14
; %bb.26:                               ;   in Loop: Header=BB48_20 Depth=2
	v_add_nc_u32_e32 v11, 3, v12
	s_mov_b32 s35, -1
	s_mov_b32 s34, -1
	s_delay_alu instid0(VALU_DEP_1) | instskip(NEXT) | instid1(VALU_DEP_1)
	v_and_b32_e32 v11, 0xff, v11
	v_lshl_add_u32 v13, v11, 2, v23
	ds_load_b32 v12, v13
	s_wait_dscnt 0x0
	v_cmp_ne_u32_e32 vcc_lo, v12, v9
                                        ; implicit-def: $vgpr12
	s_and_saveexec_b32 s33, vcc_lo
	s_cbranch_execz .LBB48_13
; %bb.27:                               ;   in Loop: Header=BB48_20 Depth=2
	ds_cmpstore_rtn_b32 v12, v13, v9, v8
	s_mov_b32 s34, 0
	s_wait_dscnt 0x0
	v_cmp_ne_u32_e32 vcc_lo, -1, v12
                                        ; implicit-def: $vgpr12
	s_and_saveexec_b32 s36, vcc_lo
	s_cbranch_execz .LBB48_12
; %bb.28:                               ;   in Loop: Header=BB48_20 Depth=2
	v_dual_add_nc_u32 v10, -4, v10 :: v_dual_add_nc_u32 v12, 1, v11
	s_mov_b32 s34, exec_lo
	s_delay_alu instid0(VALU_DEP_1)
	v_cmp_eq_u32_e32 vcc_lo, 0, v10
	s_or_not1_b32 s35, vcc_lo, exec_lo
	s_branch .LBB48_12
.LBB48_29:                              ;   in Loop: Header=BB48_11 Depth=1
	s_or_b32 exec_lo, exec_lo, s15
	s_xor_b32 s15, s22, -1
	s_delay_alu instid0(SALU_CYCLE_1) | instskip(NEXT) | instid1(SALU_CYCLE_1)
	s_and_saveexec_b32 s22, s15
	s_xor_b32 s15, exec_lo, s22
	s_cbranch_execz .LBB48_10
; %bb.30:                               ;   in Loop: Header=BB48_11 Depth=1
	v_lshl_add_u32 v9, v11, 2, v24
	ds_store_b32 v9, v7
	s_branch .LBB48_10
.LBB48_31:
	s_or_b32 exec_lo, exec_lo, s2
	s_delay_alu instid0(SALU_CYCLE_1)
	s_mov_b32 s14, exec_lo
	s_wait_loadcnt_dscnt 0x0
	v_cmpx_lt_i32_e64 v18, v16
	s_cbranch_execz .LBB48_61
; %bb.32:
	v_add_nc_u32_e32 v25, 1, v22
	s_mov_b32 s15, 0
	s_branch .LBB48_35
.LBB48_33:                              ;   in Loop: Header=BB48_35 Depth=1
	s_or_b32 exec_lo, exec_lo, s22
	v_add_nc_u32_e32 v18, 1, v18
	s_delay_alu instid0(VALU_DEP_1)
	v_cmp_ge_i32_e32 vcc_lo, v18, v16
	s_or_not1_b32 s22, vcc_lo, exec_lo
.LBB48_34:                              ;   in Loop: Header=BB48_35 Depth=1
	s_or_b32 exec_lo, exec_lo, s2
	s_delay_alu instid0(SALU_CYCLE_1) | instskip(NEXT) | instid1(SALU_CYCLE_1)
	s_and_b32 s2, exec_lo, s22
	s_or_b32 s15, s2, s15
	s_delay_alu instid0(SALU_CYCLE_1)
	s_and_not1_b32 exec_lo, exec_lo, s15
	s_cbranch_execz .LBB48_61
.LBB48_35:                              ; =>This Loop Header: Depth=1
                                        ;     Child Loop BB48_36 Depth 2
                                        ;     Child Loop BB48_41 Depth 2
                                        ;       Child Loop BB48_50 Depth 3
	s_clause 0x1
	global_load_b32 v10, v18, s[6:7] scale_offset
	global_load_b128 v[6:9], v18, s[8:9] scale_offset
	v_ashrrev_i32_e32 v19, 31, v18
	s_mov_b32 s2, 0
	s_delay_alu instid0(VALU_DEP_1)
	v_lshl_add_u64 v[20:21], v[18:19], 4, s[8:9]
	s_wait_loadcnt 0x1
	v_subrev_nc_u32_e32 v10, s28, v10
	s_clause 0x1
	global_load_b32 v13, v10, s[4:5] offset:4 scale_offset
	global_load_b32 v12, v10, s[10:11] scale_offset
	v_ashrrev_i32_e32 v11, 31, v10
	s_wait_xcnt 0x0
	s_delay_alu instid0(VALU_DEP_1)
	v_lshl_add_u64 v[10:11], v[10:11], 2, s[12:13]
.LBB48_36:                              ;   Parent Loop BB48_35 Depth=1
                                        ; =>  This Inner Loop Header: Depth=2
	global_load_b32 v19, v[10:11], off scope:SCOPE_DEV
	s_wait_loadcnt 0x0
	v_cmp_ne_u32_e32 vcc_lo, 0, v19
	s_or_b32 s2, vcc_lo, s2
	s_wait_xcnt 0x0
	s_and_not1_b32 exec_lo, exec_lo, s2
	s_cbranch_execnz .LBB48_36
; %bb.37:                               ;   in Loop: Header=BB48_35 Depth=1
	s_or_b32 exec_lo, exec_lo, s2
	v_subrev_nc_u32_e32 v19, s28, v13
	v_cmp_eq_u32_e32 vcc_lo, -1, v12
	global_inv scope:SCOPE_DEV
	s_mov_b32 s22, -1
	v_add_nc_u32_e32 v10, -1, v19
	s_delay_alu instid0(VALU_DEP_1)
	v_cndmask_b32_e32 v26, v12, v10, vcc_lo
	global_load_b128 v[10:13], v26, s[8:9] scale_offset
	s_wait_loadcnt 0x0
	v_cmp_neq_f64_e32 vcc_lo, 0, v[10:11]
	v_cmp_neq_f64_e64 s2, 0, v[12:13]
	s_or_b32 s23, vcc_lo, s2
	s_wait_xcnt 0x0
	s_and_saveexec_b32 s2, s23
	s_cbranch_execz .LBB48_34
; %bb.38:                               ;   in Loop: Header=BB48_35 Depth=1
	v_mul_f64_e32 v[28:29], v[12:13], v[12:13]
	s_mov_b32 s22, exec_lo
	s_delay_alu instid0(VALU_DEP_1) | instskip(NEXT) | instid1(VALU_DEP_1)
	v_fmac_f64_e32 v[28:29], v[10:11], v[10:11]
	v_div_scale_f64 v[30:31], null, v[28:29], v[28:29], 1.0
	v_div_scale_f64 v[36:37], vcc_lo, 1.0, v[28:29], 1.0
	s_delay_alu instid0(VALU_DEP_2) | instskip(SKIP_1) | instid1(TRANS32_DEP_1)
	v_rcp_f64_e32 v[32:33], v[30:31]
	v_nop
	v_fma_f64 v[34:35], -v[30:31], v[32:33], 1.0
	s_delay_alu instid0(VALU_DEP_1) | instskip(NEXT) | instid1(VALU_DEP_1)
	v_fmac_f64_e32 v[32:33], v[32:33], v[34:35]
	v_fma_f64 v[34:35], -v[30:31], v[32:33], 1.0
	s_delay_alu instid0(VALU_DEP_1) | instskip(NEXT) | instid1(VALU_DEP_1)
	v_fmac_f64_e32 v[32:33], v[32:33], v[34:35]
	v_mul_f64_e32 v[34:35], v[36:37], v[32:33]
	s_delay_alu instid0(VALU_DEP_1) | instskip(SKIP_2) | instid1(VALU_DEP_3)
	v_fma_f64 v[30:31], -v[30:31], v[34:35], v[36:37]
	v_mul_f64_e32 v[36:37], v[8:9], v[12:13]
	v_mul_f64_e64 v[12:13], v[12:13], -v[6:7]
	v_div_fmas_f64 v[30:31], v[30:31], v[32:33], v[34:35]
	s_delay_alu instid0(VALU_DEP_3) | instskip(NEXT) | instid1(VALU_DEP_3)
	v_fmac_f64_e32 v[36:37], v[6:7], v[10:11]
	v_fmac_f64_e32 v[12:13], v[8:9], v[10:11]
	v_add_nc_u32_e32 v10, v25, v26
	s_delay_alu instid0(VALU_DEP_4) | instskip(NEXT) | instid1(VALU_DEP_1)
	v_div_fixup_f64 v[28:29], v[30:31], v[28:29], 1.0
	v_mul_f64_e32 v[6:7], v[36:37], v[28:29]
	s_delay_alu instid0(VALU_DEP_4)
	v_mul_f64_e32 v[8:9], v[12:13], v[28:29]
	global_store_b128 v[20:21], v[6:9], off
	s_wait_xcnt 0x0
	v_cmpx_lt_i32_e64 v10, v19
	s_cbranch_execz .LBB48_33
; %bb.39:                               ;   in Loop: Header=BB48_35 Depth=1
	s_mov_b32 s23, 0
	s_branch .LBB48_41
.LBB48_40:                              ;   in Loop: Header=BB48_41 Depth=2
	s_wait_xcnt 0x0
	s_or_b32 exec_lo, exec_lo, s24
	v_add_nc_u32_e32 v10, 64, v10
	s_delay_alu instid0(VALU_DEP_1) | instskip(SKIP_1) | instid1(SALU_CYCLE_1)
	v_cmp_ge_i32_e32 vcc_lo, v10, v19
	s_or_b32 s23, vcc_lo, s23
	s_and_not1_b32 exec_lo, exec_lo, s23
	s_cbranch_execz .LBB48_33
.LBB48_41:                              ;   Parent Loop BB48_35 Depth=1
                                        ; =>  This Loop Header: Depth=2
                                        ;       Child Loop BB48_50 Depth 3
	global_load_b32 v12, v10, s[6:7] scale_offset
	v_ashrrev_i32_e32 v11, 31, v10
	v_mov_b32_e32 v13, 0x100
	s_mov_b32 s24, 0
                                        ; implicit-def: $sgpr25
                                        ; implicit-def: $sgpr26
                                        ; implicit-def: $sgpr27
	s_wait_loadcnt 0x0
	v_mul_lo_u32 v21, 0x67, v12
	s_branch .LBB48_50
.LBB48_42:                              ;   in Loop: Header=BB48_50 Depth=3
	s_or_b32 exec_lo, exec_lo, s39
	s_delay_alu instid0(SALU_CYCLE_1)
	s_or_not1_b32 s37, s37, exec_lo
	s_or_not1_b32 s38, s38, exec_lo
.LBB48_43:                              ;   in Loop: Header=BB48_50 Depth=3
	s_or_b32 exec_lo, exec_lo, s36
	s_delay_alu instid0(SALU_CYCLE_1)
	s_and_b32 s37, s37, exec_lo
	s_or_not1_b32 s36, s38, exec_lo
.LBB48_44:                              ;   in Loop: Header=BB48_50 Depth=3
	s_or_b32 exec_lo, exec_lo, s35
	s_delay_alu instid0(SALU_CYCLE_1)
	s_or_not1_b32 s35, s37, exec_lo
	s_or_not1_b32 s36, s36, exec_lo
.LBB48_45:                              ;   in Loop: Header=BB48_50 Depth=3
	s_or_b32 exec_lo, exec_lo, s34
	s_delay_alu instid0(SALU_CYCLE_1)
	s_and_b32 s35, s35, exec_lo
	s_or_not1_b32 s34, s36, exec_lo
.LBB48_46:                              ;   in Loop: Header=BB48_50 Depth=3
	s_or_b32 exec_lo, exec_lo, s33
	s_delay_alu instid0(SALU_CYCLE_1)
	s_or_not1_b32 s33, s35, exec_lo
	s_or_not1_b32 s34, s34, exec_lo
.LBB48_47:                              ;   in Loop: Header=BB48_50 Depth=3
	s_or_b32 exec_lo, exec_lo, s31
	s_delay_alu instid0(SALU_CYCLE_1)
	s_and_b32 s33, s33, exec_lo
	s_or_not1_b32 s31, s34, exec_lo
.LBB48_48:                              ;   in Loop: Header=BB48_50 Depth=3
	s_or_b32 exec_lo, exec_lo, s30
	s_delay_alu instid0(SALU_CYCLE_1)
	s_and_not1_b32 s27, s27, exec_lo
	s_and_b32 s30, s33, exec_lo
	s_and_not1_b32 s26, s26, exec_lo
	s_and_b32 s31, s31, exec_lo
	s_or_b32 s27, s27, s30
	s_or_b32 s26, s26, s31
.LBB48_49:                              ;   in Loop: Header=BB48_50 Depth=3
	s_or_b32 exec_lo, exec_lo, s29
	s_delay_alu instid0(SALU_CYCLE_1) | instskip(NEXT) | instid1(SALU_CYCLE_1)
	s_and_b32 s29, exec_lo, s26
	s_or_b32 s24, s29, s24
	s_and_not1_b32 s25, s25, exec_lo
	s_and_b32 s29, s27, exec_lo
	s_delay_alu instid0(SALU_CYCLE_1)
	s_or_b32 s25, s25, s29
	s_and_not1_b32 exec_lo, exec_lo, s24
	s_cbranch_execz .LBB48_59
.LBB48_50:                              ;   Parent Loop BB48_35 Depth=1
                                        ;     Parent Loop BB48_41 Depth=2
                                        ; =>    This Inner Loop Header: Depth=3
	s_delay_alu instid0(VALU_DEP_1) | instskip(SKIP_3) | instid1(VALU_DEP_1)
	v_and_b32_e32 v20, 0xff, v21
	s_or_b32 s27, s27, exec_lo
	s_or_b32 s26, s26, exec_lo
	s_mov_b32 s29, exec_lo
	v_lshl_add_u32 v26, v20, 2, v23
	ds_load_b32 v26, v26
	s_wait_dscnt 0x0
	s_wait_xcnt 0x0
	v_cmpx_ne_u32_e32 -1, v26
	s_cbranch_execz .LBB48_49
; %bb.51:                               ;   in Loop: Header=BB48_50 Depth=3
	s_mov_b32 s31, -1
	s_mov_b32 s33, 0
	s_mov_b32 s30, exec_lo
	v_cmpx_ne_u32_e64 v26, v12
	s_cbranch_execz .LBB48_48
; %bb.52:                               ;   in Loop: Header=BB48_50 Depth=3
	v_add_nc_u32_e32 v20, 1, v21
	s_mov_b32 s34, -1
	s_mov_b32 s33, -1
	s_mov_b32 s31, exec_lo
	s_delay_alu instid0(VALU_DEP_1) | instskip(NEXT) | instid1(VALU_DEP_1)
	v_and_b32_e32 v20, 0xff, v20
	v_lshl_add_u32 v26, v20, 2, v23
	ds_load_b32 v26, v26
	s_wait_dscnt 0x0
	v_cmpx_ne_u32_e32 -1, v26
	s_cbranch_execz .LBB48_47
; %bb.53:                               ;   in Loop: Header=BB48_50 Depth=3
	s_mov_b32 s35, 0
	s_mov_b32 s33, exec_lo
	v_cmpx_ne_u32_e64 v26, v12
	s_cbranch_execz .LBB48_46
; %bb.54:                               ;   in Loop: Header=BB48_50 Depth=3
	v_add_nc_u32_e32 v20, 2, v21
	s_mov_b32 s36, -1
	s_mov_b32 s35, -1
	s_mov_b32 s34, exec_lo
	s_delay_alu instid0(VALU_DEP_1) | instskip(NEXT) | instid1(VALU_DEP_1)
	v_and_b32_e32 v20, 0xff, v20
	v_lshl_add_u32 v26, v20, 2, v23
	ds_load_b32 v26, v26
	s_wait_dscnt 0x0
	v_cmpx_ne_u32_e32 -1, v26
	s_cbranch_execz .LBB48_45
; %bb.55:                               ;   in Loop: Header=BB48_50 Depth=3
	s_mov_b32 s37, 0
	s_mov_b32 s35, exec_lo
	v_cmpx_ne_u32_e64 v26, v12
	s_cbranch_execz .LBB48_44
; %bb.56:                               ;   in Loop: Header=BB48_50 Depth=3
	v_add_nc_u32_e32 v20, 3, v21
	s_mov_b32 s38, -1
	s_mov_b32 s37, -1
	s_mov_b32 s36, exec_lo
	s_delay_alu instid0(VALU_DEP_1) | instskip(NEXT) | instid1(VALU_DEP_1)
	v_and_b32_e32 v20, 0xff, v20
	v_lshl_add_u32 v21, v20, 2, v23
	ds_load_b32 v26, v21
                                        ; implicit-def: $vgpr21
	s_wait_dscnt 0x0
	v_cmpx_ne_u32_e32 -1, v26
	s_cbranch_execz .LBB48_43
; %bb.57:                               ;   in Loop: Header=BB48_50 Depth=3
	s_mov_b32 s37, 0
	s_mov_b32 s39, exec_lo
                                        ; implicit-def: $vgpr21
	v_cmpx_ne_u32_e64 v26, v12
	s_cbranch_execz .LBB48_42
; %bb.58:                               ;   in Loop: Header=BB48_50 Depth=3
	v_dual_add_nc_u32 v13, -4, v13 :: v_dual_add_nc_u32 v21, 1, v20
	s_mov_b32 s37, exec_lo
	s_delay_alu instid0(VALU_DEP_1)
	v_cmp_eq_u32_e32 vcc_lo, 0, v13
	s_or_not1_b32 s38, vcc_lo, exec_lo
	s_branch .LBB48_42
.LBB48_59:                              ;   in Loop: Header=BB48_41 Depth=2
	s_or_b32 exec_lo, exec_lo, s24
	s_xor_b32 s24, s25, -1
	s_delay_alu instid0(SALU_CYCLE_1) | instskip(NEXT) | instid1(SALU_CYCLE_1)
	s_and_saveexec_b32 s25, s24
	s_xor_b32 s24, exec_lo, s25
	s_cbranch_execz .LBB48_40
; %bb.60:                               ;   in Loop: Header=BB48_41 Depth=2
	v_lshl_add_u32 v12, v20, 2, v24
	ds_load_b32 v20, v12
	v_lshl_add_u64 v[12:13], v[10:11], 4, s[8:9]
	global_load_b128 v[26:29], v[12:13], off
	s_wait_dscnt 0x0
	global_load_b128 v[30:33], v20, s[8:9] scale_offset
	s_wait_loadcnt 0x0
	v_fma_f64 v[30:31], -v[6:7], v[26:27], v[30:31]
	s_wait_xcnt 0x1
	v_fma_f64 v[12:13], -v[8:9], v[26:27], v[32:33]
	s_delay_alu instid0(VALU_DEP_2) | instskip(NEXT) | instid1(VALU_DEP_2)
	v_fmac_f64_e32 v[30:31], v[8:9], v[28:29]
	v_fma_f64 v[32:33], -v[6:7], v[28:29], v[12:13]
	global_store_b128 v20, v[30:33], s[8:9] scale_offset
	s_branch .LBB48_40
.LBB48_61:
	s_or_b32 exec_lo, exec_lo, s14
	s_delay_alu instid0(SALU_CYCLE_1)
	s_mov_b32 s4, exec_lo
	s_wait_storecnt 0x0
	v_cmpx_lt_i32_e32 -1, v16
	s_cbranch_execz .LBB48_83
; %bb.62:
	global_load_b128 v[6:9], v16, s[8:9] scale_offset
	s_mov_b32 s2, exec_lo
                                        ; implicit-def: $vgpr18_vgpr19
	s_wait_loadcnt 0x0
	v_cmp_gt_f64_e32 vcc_lo, 0, v[6:7]
	v_xor_b32_e32 v11, 0x80000000, v7
	v_mov_b32_e32 v10, v6
	v_xor_b32_e32 v12, 0x80000000, v9
	s_delay_alu instid0(VALU_DEP_3) | instskip(SKIP_1) | instid1(VALU_DEP_3)
	v_cndmask_b32_e32 v11, v7, v11, vcc_lo
	v_cmp_gt_f64_e32 vcc_lo, 0, v[8:9]
	v_dual_cndmask_b32 v13, v9, v12 :: v_dual_mov_b32 v12, v8
	s_delay_alu instid0(VALU_DEP_1)
	v_cmpx_ngt_f64_e32 v[10:11], v[12:13]
	s_xor_b32 s2, exec_lo, s2
	s_cbranch_execz .LBB48_66
; %bb.63:
	v_mov_b64_e32 v[18:19], 0
	s_mov_b32 s5, exec_lo
	v_cmpx_neq_f64_e32 0, v[8:9]
	s_cbranch_execz .LBB48_65
; %bb.64:
	v_div_scale_f64 v[18:19], null, v[12:13], v[12:13], v[10:11]
	v_div_scale_f64 v[26:27], vcc_lo, v[10:11], v[12:13], v[10:11]
	s_delay_alu instid0(VALU_DEP_2) | instskip(SKIP_1) | instid1(TRANS32_DEP_1)
	v_rcp_f64_e32 v[20:21], v[18:19]
	v_nop
	v_fma_f64 v[24:25], -v[18:19], v[20:21], 1.0
	s_delay_alu instid0(VALU_DEP_1) | instskip(NEXT) | instid1(VALU_DEP_1)
	v_fmac_f64_e32 v[20:21], v[20:21], v[24:25]
	v_fma_f64 v[24:25], -v[18:19], v[20:21], 1.0
	s_delay_alu instid0(VALU_DEP_1) | instskip(NEXT) | instid1(VALU_DEP_1)
	v_fmac_f64_e32 v[20:21], v[20:21], v[24:25]
	v_mul_f64_e32 v[24:25], v[26:27], v[20:21]
	s_delay_alu instid0(VALU_DEP_1) | instskip(NEXT) | instid1(VALU_DEP_1)
	v_fma_f64 v[18:19], -v[18:19], v[24:25], v[26:27]
	v_div_fmas_f64 v[18:19], v[18:19], v[20:21], v[24:25]
	s_delay_alu instid0(VALU_DEP_1) | instskip(NEXT) | instid1(VALU_DEP_1)
	v_div_fixup_f64 v[10:11], v[18:19], v[12:13], v[10:11]
	v_fma_f64 v[10:11], v[10:11], v[10:11], 1.0
	s_delay_alu instid0(VALU_DEP_1) | instskip(SKIP_1) | instid1(VALU_DEP_1)
	v_cmp_gt_f64_e32 vcc_lo, 0x10000000, v[10:11]
	v_cndmask_b32_e64 v18, 0, 0x100, vcc_lo
	v_ldexp_f64 v[10:11], v[10:11], v18
	s_delay_alu instid0(VALU_DEP_1) | instskip(SKIP_1) | instid1(TRANS32_DEP_1)
	v_rsq_f64_e32 v[18:19], v[10:11]
	v_nop
	v_mul_f64_e32 v[20:21], v[10:11], v[18:19]
	v_mul_f64_e32 v[18:19], 0.5, v[18:19]
	s_delay_alu instid0(VALU_DEP_1) | instskip(NEXT) | instid1(VALU_DEP_1)
	v_fma_f64 v[24:25], -v[18:19], v[20:21], 0.5
	v_fmac_f64_e32 v[20:21], v[20:21], v[24:25]
	v_fmac_f64_e32 v[18:19], v[18:19], v[24:25]
	s_delay_alu instid0(VALU_DEP_2) | instskip(NEXT) | instid1(VALU_DEP_1)
	v_fma_f64 v[24:25], -v[20:21], v[20:21], v[10:11]
	v_fmac_f64_e32 v[20:21], v[24:25], v[18:19]
	s_delay_alu instid0(VALU_DEP_1) | instskip(NEXT) | instid1(VALU_DEP_1)
	v_fma_f64 v[24:25], -v[20:21], v[20:21], v[10:11]
	v_fmac_f64_e32 v[20:21], v[24:25], v[18:19]
	v_cndmask_b32_e64 v18, 0, 0xffffff80, vcc_lo
	v_cmp_class_f64_e64 vcc_lo, v[10:11], 0x260
	s_delay_alu instid0(VALU_DEP_2) | instskip(NEXT) | instid1(VALU_DEP_1)
	v_ldexp_f64 v[18:19], v[20:21], v18
	v_dual_cndmask_b32 v11, v19, v11 :: v_dual_cndmask_b32 v10, v18, v10
	s_delay_alu instid0(VALU_DEP_1)
	v_mul_f64_e32 v[18:19], v[12:13], v[10:11]
.LBB48_65:
	s_or_b32 exec_lo, exec_lo, s5
                                        ; implicit-def: $vgpr10_vgpr11
                                        ; implicit-def: $vgpr12_vgpr13
.LBB48_66:
	s_and_not1_saveexec_b32 s2, s2
	s_cbranch_execz .LBB48_68
; %bb.67:
	v_div_scale_f64 v[18:19], null, v[10:11], v[10:11], v[12:13]
	v_div_scale_f64 v[26:27], vcc_lo, v[12:13], v[10:11], v[12:13]
	s_delay_alu instid0(VALU_DEP_2) | instskip(SKIP_1) | instid1(TRANS32_DEP_1)
	v_rcp_f64_e32 v[20:21], v[18:19]
	v_nop
	v_fma_f64 v[24:25], -v[18:19], v[20:21], 1.0
	s_delay_alu instid0(VALU_DEP_1) | instskip(NEXT) | instid1(VALU_DEP_1)
	v_fmac_f64_e32 v[20:21], v[20:21], v[24:25]
	v_fma_f64 v[24:25], -v[18:19], v[20:21], 1.0
	s_delay_alu instid0(VALU_DEP_1) | instskip(NEXT) | instid1(VALU_DEP_1)
	v_fmac_f64_e32 v[20:21], v[20:21], v[24:25]
	v_mul_f64_e32 v[24:25], v[26:27], v[20:21]
	s_delay_alu instid0(VALU_DEP_1) | instskip(NEXT) | instid1(VALU_DEP_1)
	v_fma_f64 v[18:19], -v[18:19], v[24:25], v[26:27]
	v_div_fmas_f64 v[18:19], v[18:19], v[20:21], v[24:25]
	s_delay_alu instid0(VALU_DEP_1) | instskip(NEXT) | instid1(VALU_DEP_1)
	v_div_fixup_f64 v[12:13], v[18:19], v[10:11], v[12:13]
	v_fma_f64 v[12:13], v[12:13], v[12:13], 1.0
	s_delay_alu instid0(VALU_DEP_1) | instskip(SKIP_1) | instid1(VALU_DEP_1)
	v_cmp_gt_f64_e32 vcc_lo, 0x10000000, v[12:13]
	v_cndmask_b32_e64 v18, 0, 0x100, vcc_lo
	v_ldexp_f64 v[12:13], v[12:13], v18
	s_delay_alu instid0(VALU_DEP_1) | instskip(SKIP_1) | instid1(TRANS32_DEP_1)
	v_rsq_f64_e32 v[18:19], v[12:13]
	v_nop
	v_mul_f64_e32 v[20:21], v[12:13], v[18:19]
	v_mul_f64_e32 v[18:19], 0.5, v[18:19]
	s_delay_alu instid0(VALU_DEP_1) | instskip(NEXT) | instid1(VALU_DEP_1)
	v_fma_f64 v[24:25], -v[18:19], v[20:21], 0.5
	v_fmac_f64_e32 v[20:21], v[20:21], v[24:25]
	v_fmac_f64_e32 v[18:19], v[18:19], v[24:25]
	s_delay_alu instid0(VALU_DEP_2) | instskip(NEXT) | instid1(VALU_DEP_1)
	v_fma_f64 v[24:25], -v[20:21], v[20:21], v[12:13]
	v_fmac_f64_e32 v[20:21], v[24:25], v[18:19]
	s_delay_alu instid0(VALU_DEP_1) | instskip(NEXT) | instid1(VALU_DEP_1)
	v_fma_f64 v[24:25], -v[20:21], v[20:21], v[12:13]
	v_fmac_f64_e32 v[20:21], v[24:25], v[18:19]
	v_cndmask_b32_e64 v18, 0, 0xffffff80, vcc_lo
	v_cmp_class_f64_e64 vcc_lo, v[12:13], 0x260
	s_delay_alu instid0(VALU_DEP_2) | instskip(NEXT) | instid1(VALU_DEP_1)
	v_ldexp_f64 v[18:19], v[20:21], v18
	v_dual_cndmask_b32 v13, v19, v13 :: v_dual_cndmask_b32 v12, v18, v12
	s_delay_alu instid0(VALU_DEP_1)
	v_mul_f64_e32 v[18:19], v[10:11], v[12:13]
.LBB48_68:
	s_or_b32 exec_lo, exec_lo, s2
	v_cmp_ne_u32_e32 vcc_lo, 1, v17
	v_cmp_eq_u32_e64 s2, 0, v22
	s_mov_b32 s5, -1
	s_cbranch_vccnz .LBB48_72
; %bb.69:
	v_cvt_f64_f32_e32 v[10:11], s3
	s_cmp_eq_u64 s[20:21], 8
	s_cselect_b32 vcc_lo, -1, 0
	s_delay_alu instid0(VALU_DEP_1) | instskip(NEXT) | instid1(VALU_DEP_1)
	v_dual_cndmask_b32 v11, v11, v15 :: v_dual_cndmask_b32 v10, v10, v14
	v_cmp_le_f64_e32 vcc_lo, v[18:19], v[10:11]
	s_and_b32 s5, s2, vcc_lo
	s_delay_alu instid0(SALU_CYCLE_1)
	s_and_saveexec_b32 s3, s5
	s_cbranch_execz .LBB48_71
; %bb.70:
	v_mov_b32_e32 v17, 0
	s_delay_alu instid0(VALU_DEP_1)
	v_lshl_add_u64 v[10:11], v[16:17], 4, s[8:9]
	global_store_b128 v[10:11], v[2:5], off
	global_wb scope:SCOPE_DEV
	s_wait_storecnt 0x0
	global_inv scope:SCOPE_DEV
.LBB48_71:
	s_wait_xcnt 0x0
	s_or_b32 exec_lo, exec_lo, s3
	s_mov_b32 s5, 0
.LBB48_72:
	s_delay_alu instid0(SALU_CYCLE_1)
	s_and_not1_b32 vcc_lo, exec_lo, s5
	s_cbranch_vccnz .LBB48_83
; %bb.73:
	s_load_b64 s[0:1], s[0:1], 0x48
	v_add_nc_u32_e32 v2, s28, v0
	s_wait_kmcnt 0x0
	v_cmp_ge_f64_e32 vcc_lo, s[0:1], v[18:19]
	s_and_b32 s1, s2, vcc_lo
	s_delay_alu instid0(SALU_CYCLE_1)
	s_and_saveexec_b32 s0, s1
	s_cbranch_execz .LBB48_78
; %bb.74:
	s_mov_b32 s3, exec_lo
	s_brev_b32 s1, -2
.LBB48_75:                              ; =>This Inner Loop Header: Depth=1
	s_ctz_i32_b32 s5, s3
	s_delay_alu instid0(SALU_CYCLE_1) | instskip(SKIP_1) | instid1(SALU_CYCLE_1)
	v_readlane_b32 s6, v2, s5
	s_lshl_b32 s5, 1, s5
	s_and_not1_b32 s3, s3, s5
	s_min_i32 s1, s1, s6
	s_cmp_lg_u32 s3, 0
	s_cbranch_scc1 .LBB48_75
; %bb.76:
	v_mbcnt_lo_u32_b32 v3, exec_lo, 0
	s_mov_b32 s3, exec_lo
	s_delay_alu instid0(VALU_DEP_1)
	v_cmpx_eq_u32_e32 0, v3
	s_xor_b32 s3, exec_lo, s3
	s_cbranch_execz .LBB48_78
; %bb.77:
	v_dual_mov_b32 v3, 0 :: v_dual_mov_b32 v4, s1
	global_atomic_min_i32 v3, v4, s[18:19] scope:SCOPE_DEV
.LBB48_78:
	s_wait_xcnt 0x0
	s_or_b32 exec_lo, exec_lo, s0
	v_cmp_eq_f64_e32 vcc_lo, 0, v[6:7]
	v_cmp_eq_f64_e64 s0, 0, v[8:9]
	s_and_b32 s0, vcc_lo, s0
	s_delay_alu instid0(SALU_CYCLE_1) | instskip(NEXT) | instid1(SALU_CYCLE_1)
	s_and_b32 s0, s2, s0
	s_and_b32 exec_lo, exec_lo, s0
	s_cbranch_execz .LBB48_83
; %bb.79:
	s_mov_b32 s1, exec_lo
	s_brev_b32 s0, -2
.LBB48_80:                              ; =>This Inner Loop Header: Depth=1
	s_ctz_i32_b32 s2, s1
	s_delay_alu instid0(SALU_CYCLE_1) | instskip(SKIP_1) | instid1(SALU_CYCLE_1)
	v_readlane_b32 s3, v2, s2
	s_lshl_b32 s2, 1, s2
	s_and_not1_b32 s1, s1, s2
	s_min_i32 s0, s0, s3
	s_cmp_lg_u32 s1, 0
	s_cbranch_scc1 .LBB48_80
; %bb.81:
	v_mbcnt_lo_u32_b32 v2, exec_lo, 0
	s_mov_b32 s1, exec_lo
	s_delay_alu instid0(VALU_DEP_1)
	v_cmpx_eq_u32_e32 0, v2
	s_xor_b32 s1, exec_lo, s1
	s_cbranch_execz .LBB48_83
; %bb.82:
	v_dual_mov_b32 v2, 0 :: v_dual_mov_b32 v3, s0
	global_atomic_min_i32 v2, v3, s[16:17] scope:SCOPE_DEV
.LBB48_83:
	s_wait_xcnt 0x0
	s_or_b32 exec_lo, exec_lo, s4
	v_cmp_eq_u32_e32 vcc_lo, 0, v22
	global_wb scope:SCOPE_DEV
	s_wait_loadcnt 0x0
	s_wait_storecnt 0x0
	global_inv scope:SCOPE_DEV
	s_and_b32 exec_lo, exec_lo, vcc_lo
	s_cbranch_execz .LBB48_85
; %bb.84:
	v_lshl_add_u64 v[0:1], v[0:1], 2, s[12:13]
	v_mov_b32_e32 v2, 1
	global_wb scope:SCOPE_DEV
	s_wait_loadcnt 0x0
	s_wait_storecnt 0x0
	global_store_b32 v[0:1], v2, off scope:SCOPE_DEV
.LBB48_85:
	s_endpgm
	.section	.rodata,"a",@progbits
	.p2align	6, 0x0
	.amdhsa_kernel _ZN9rocsparseL12csrilu0_hashILj256ELj64ELj4E21rocsparse_complex_numIdEEEviPKiS4_PT2_S4_PiS4_S7_S7_d21rocsparse_index_base_imNS_24const_host_device_scalarIfEENS9_IdEENS9_IS5_EEb
		.amdhsa_group_segment_fixed_size 8192
		.amdhsa_private_segment_fixed_size 16
		.amdhsa_kernarg_size 132
		.amdhsa_user_sgpr_count 2
		.amdhsa_user_sgpr_dispatch_ptr 0
		.amdhsa_user_sgpr_queue_ptr 0
		.amdhsa_user_sgpr_kernarg_segment_ptr 1
		.amdhsa_user_sgpr_dispatch_id 0
		.amdhsa_user_sgpr_kernarg_preload_length 0
		.amdhsa_user_sgpr_kernarg_preload_offset 0
		.amdhsa_user_sgpr_private_segment_size 0
		.amdhsa_wavefront_size32 1
		.amdhsa_uses_dynamic_stack 0
		.amdhsa_enable_private_segment 1
		.amdhsa_system_sgpr_workgroup_id_x 1
		.amdhsa_system_sgpr_workgroup_id_y 0
		.amdhsa_system_sgpr_workgroup_id_z 0
		.amdhsa_system_sgpr_workgroup_info 0
		.amdhsa_system_vgpr_workitem_id 0
		.amdhsa_next_free_vgpr 38
		.amdhsa_next_free_sgpr 40
		.amdhsa_named_barrier_count 0
		.amdhsa_reserve_vcc 1
		.amdhsa_float_round_mode_32 0
		.amdhsa_float_round_mode_16_64 0
		.amdhsa_float_denorm_mode_32 3
		.amdhsa_float_denorm_mode_16_64 3
		.amdhsa_fp16_overflow 0
		.amdhsa_memory_ordered 1
		.amdhsa_forward_progress 1
		.amdhsa_inst_pref_size 29
		.amdhsa_round_robin_scheduling 0
		.amdhsa_exception_fp_ieee_invalid_op 0
		.amdhsa_exception_fp_denorm_src 0
		.amdhsa_exception_fp_ieee_div_zero 0
		.amdhsa_exception_fp_ieee_overflow 0
		.amdhsa_exception_fp_ieee_underflow 0
		.amdhsa_exception_fp_ieee_inexact 0
		.amdhsa_exception_int_div_zero 0
	.end_amdhsa_kernel
	.section	.text._ZN9rocsparseL12csrilu0_hashILj256ELj64ELj4E21rocsparse_complex_numIdEEEviPKiS4_PT2_S4_PiS4_S7_S7_d21rocsparse_index_base_imNS_24const_host_device_scalarIfEENS9_IdEENS9_IS5_EEb,"axG",@progbits,_ZN9rocsparseL12csrilu0_hashILj256ELj64ELj4E21rocsparse_complex_numIdEEEviPKiS4_PT2_S4_PiS4_S7_S7_d21rocsparse_index_base_imNS_24const_host_device_scalarIfEENS9_IdEENS9_IS5_EEb,comdat
.Lfunc_end48:
	.size	_ZN9rocsparseL12csrilu0_hashILj256ELj64ELj4E21rocsparse_complex_numIdEEEviPKiS4_PT2_S4_PiS4_S7_S7_d21rocsparse_index_base_imNS_24const_host_device_scalarIfEENS9_IdEENS9_IS5_EEb, .Lfunc_end48-_ZN9rocsparseL12csrilu0_hashILj256ELj64ELj4E21rocsparse_complex_numIdEEEviPKiS4_PT2_S4_PiS4_S7_S7_d21rocsparse_index_base_imNS_24const_host_device_scalarIfEENS9_IdEENS9_IS5_EEb
                                        ; -- End function
	.set _ZN9rocsparseL12csrilu0_hashILj256ELj64ELj4E21rocsparse_complex_numIdEEEviPKiS4_PT2_S4_PiS4_S7_S7_d21rocsparse_index_base_imNS_24const_host_device_scalarIfEENS9_IdEENS9_IS5_EEb.num_vgpr, 38
	.set _ZN9rocsparseL12csrilu0_hashILj256ELj64ELj4E21rocsparse_complex_numIdEEEviPKiS4_PT2_S4_PiS4_S7_S7_d21rocsparse_index_base_imNS_24const_host_device_scalarIfEENS9_IdEENS9_IS5_EEb.num_agpr, 0
	.set _ZN9rocsparseL12csrilu0_hashILj256ELj64ELj4E21rocsparse_complex_numIdEEEviPKiS4_PT2_S4_PiS4_S7_S7_d21rocsparse_index_base_imNS_24const_host_device_scalarIfEENS9_IdEENS9_IS5_EEb.numbered_sgpr, 40
	.set _ZN9rocsparseL12csrilu0_hashILj256ELj64ELj4E21rocsparse_complex_numIdEEEviPKiS4_PT2_S4_PiS4_S7_S7_d21rocsparse_index_base_imNS_24const_host_device_scalarIfEENS9_IdEENS9_IS5_EEb.num_named_barrier, 0
	.set _ZN9rocsparseL12csrilu0_hashILj256ELj64ELj4E21rocsparse_complex_numIdEEEviPKiS4_PT2_S4_PiS4_S7_S7_d21rocsparse_index_base_imNS_24const_host_device_scalarIfEENS9_IdEENS9_IS5_EEb.private_seg_size, 16
	.set _ZN9rocsparseL12csrilu0_hashILj256ELj64ELj4E21rocsparse_complex_numIdEEEviPKiS4_PT2_S4_PiS4_S7_S7_d21rocsparse_index_base_imNS_24const_host_device_scalarIfEENS9_IdEENS9_IS5_EEb.uses_vcc, 1
	.set _ZN9rocsparseL12csrilu0_hashILj256ELj64ELj4E21rocsparse_complex_numIdEEEviPKiS4_PT2_S4_PiS4_S7_S7_d21rocsparse_index_base_imNS_24const_host_device_scalarIfEENS9_IdEENS9_IS5_EEb.uses_flat_scratch, 0
	.set _ZN9rocsparseL12csrilu0_hashILj256ELj64ELj4E21rocsparse_complex_numIdEEEviPKiS4_PT2_S4_PiS4_S7_S7_d21rocsparse_index_base_imNS_24const_host_device_scalarIfEENS9_IdEENS9_IS5_EEb.has_dyn_sized_stack, 0
	.set _ZN9rocsparseL12csrilu0_hashILj256ELj64ELj4E21rocsparse_complex_numIdEEEviPKiS4_PT2_S4_PiS4_S7_S7_d21rocsparse_index_base_imNS_24const_host_device_scalarIfEENS9_IdEENS9_IS5_EEb.has_recursion, 0
	.set _ZN9rocsparseL12csrilu0_hashILj256ELj64ELj4E21rocsparse_complex_numIdEEEviPKiS4_PT2_S4_PiS4_S7_S7_d21rocsparse_index_base_imNS_24const_host_device_scalarIfEENS9_IdEENS9_IS5_EEb.has_indirect_call, 0
	.section	.AMDGPU.csdata,"",@progbits
; Kernel info:
; codeLenInByte = 3608
; TotalNumSgprs: 42
; NumVgprs: 38
; ScratchSize: 16
; MemoryBound: 0
; FloatMode: 240
; IeeeMode: 1
; LDSByteSize: 8192 bytes/workgroup (compile time only)
; SGPRBlocks: 0
; VGPRBlocks: 2
; NumSGPRsForWavesPerEU: 42
; NumVGPRsForWavesPerEU: 38
; NamedBarCnt: 0
; Occupancy: 16
; WaveLimiterHint : 1
; COMPUTE_PGM_RSRC2:SCRATCH_EN: 1
; COMPUTE_PGM_RSRC2:USER_SGPR: 2
; COMPUTE_PGM_RSRC2:TRAP_HANDLER: 0
; COMPUTE_PGM_RSRC2:TGID_X_EN: 1
; COMPUTE_PGM_RSRC2:TGID_Y_EN: 0
; COMPUTE_PGM_RSRC2:TGID_Z_EN: 0
; COMPUTE_PGM_RSRC2:TIDIG_COMP_CNT: 0
	.section	.text._ZN9rocsparseL12csrilu0_hashILj256ELj64ELj8E21rocsparse_complex_numIdEEEviPKiS4_PT2_S4_PiS4_S7_S7_d21rocsparse_index_base_imNS_24const_host_device_scalarIfEENS9_IdEENS9_IS5_EEb,"axG",@progbits,_ZN9rocsparseL12csrilu0_hashILj256ELj64ELj8E21rocsparse_complex_numIdEEEviPKiS4_PT2_S4_PiS4_S7_S7_d21rocsparse_index_base_imNS_24const_host_device_scalarIfEENS9_IdEENS9_IS5_EEb,comdat
	.globl	_ZN9rocsparseL12csrilu0_hashILj256ELj64ELj8E21rocsparse_complex_numIdEEEviPKiS4_PT2_S4_PiS4_S7_S7_d21rocsparse_index_base_imNS_24const_host_device_scalarIfEENS9_IdEENS9_IS5_EEb ; -- Begin function _ZN9rocsparseL12csrilu0_hashILj256ELj64ELj8E21rocsparse_complex_numIdEEEviPKiS4_PT2_S4_PiS4_S7_S7_d21rocsparse_index_base_imNS_24const_host_device_scalarIfEENS9_IdEENS9_IS5_EEb
	.p2align	8
	.type	_ZN9rocsparseL12csrilu0_hashILj256ELj64ELj8E21rocsparse_complex_numIdEEEviPKiS4_PT2_S4_PiS4_S7_S7_d21rocsparse_index_base_imNS_24const_host_device_scalarIfEENS9_IdEENS9_IS5_EEb,@function
_ZN9rocsparseL12csrilu0_hashILj256ELj64ELj8E21rocsparse_complex_numIdEEEviPKiS4_PT2_S4_PiS4_S7_S7_d21rocsparse_index_base_imNS_24const_host_device_scalarIfEENS9_IdEENS9_IS5_EEb: ; @_ZN9rocsparseL12csrilu0_hashILj256ELj64ELj8E21rocsparse_complex_numIdEEEviPKiS4_PT2_S4_PiS4_S7_S7_d21rocsparse_index_base_imNS_24const_host_device_scalarIfEENS9_IdEENS9_IS5_EEb
; %bb.0:
	s_clause 0x2
	s_load_b96 s[4:6], s[0:1], 0x78
	s_load_b64 s[28:29], s[0:1], 0x50
	s_load_b256 s[20:27], s[0:1], 0x58
	s_wait_kmcnt 0x0
	s_bitcmp1_b32 s6, 0
	s_cselect_b32 s2, -1, 0
	s_cmp_eq_u32 s29, 0
	v_mov_b64_e32 v[2:3], s[26:27]
	s_cselect_b32 s3, -1, 0
	s_cmp_lg_u32 s29, 0
	s_cselect_b32 s8, -1, 0
	s_or_b32 s10, s3, s2
	s_delay_alu instid0(SALU_CYCLE_1)
	s_xor_b32 s9, s10, -1
	s_and_b32 s3, s3, exec_lo
	s_cselect_b32 s7, 0, s25
	s_cselect_b32 s6, 0, s24
	;; [unrolled: 1-line block ×3, first 2 shown]
	s_and_b32 vcc_lo, exec_lo, s10
	scratch_store_b64 off, v[2:3], off
	s_cbranch_vccnz .LBB49_2
; %bb.1:
	s_load_b32 s3, s[22:23], 0x0
	s_mov_b64 s[6:7], s[24:25]
.LBB49_2:
	s_delay_alu instid0(SALU_CYCLE_1)
	v_mov_b64_e32 v[14:15], s[6:7]
	s_and_not1_b32 vcc_lo, exec_lo, s9
	s_cbranch_vccnz .LBB49_4
; %bb.3:
	v_mov_b32_e32 v1, 0
	flat_load_b64 v[14:15], v1, s[24:25]
.LBB49_4:
	v_mov_b64_e32 v[4:5], 0
	s_wait_xcnt 0x0
	v_mov_b64_e32 v[2:3], 0
	v_cndmask_b32_e64 v17, 0, 1, s8
	s_and_not1_b32 vcc_lo, exec_lo, s8
	s_cbranch_vccnz .LBB49_7
; %bb.5:
	v_mbcnt_lo_u32_b32 v1, -1, 0
	v_mov_b32_e32 v2, 0
	v_mov_b64_e32 v[4:5], s[4:5]
	s_delay_alu instid0(VALU_DEP_3) | instskip(NEXT) | instid1(VALU_DEP_1)
	v_lshlrev_b32_e32 v3, 20, v1
	v_add_nc_u64_e32 v[2:3], src_flat_scratch_base_lo, v[2:3]
	s_delay_alu instid0(VALU_DEP_1) | instskip(NEXT) | instid1(VALU_DEP_2)
	v_cndmask_b32_e64 v3, s27, v3, s2
	v_cndmask_b32_e64 v2, s26, v2, s2
	s_xor_b32 s2, s2, -1
	s_delay_alu instid0(SALU_CYCLE_1)
	s_and_not1_b32 vcc_lo, exec_lo, s2
	flat_load_b64 v[2:3], v[2:3]
	s_cbranch_vccnz .LBB49_7
; %bb.6:
	v_mov_b32_e32 v1, 0
	flat_load_b64 v[4:5], v1, s[26:27] offset:8
.LBB49_7:
	s_load_b32 s2, s[0:1], 0x0
	s_bfe_u32 s4, ttmp6, 0x4000c
	v_dual_lshlrev_b32 v1, 3, v0 :: v_dual_bitop2_b32 v22, 63, v0 bitop3:0x40
	s_add_co_i32 s4, s4, 1
	s_and_b32 s5, ttmp6, 15
	s_mul_i32 s4, ttmp9, s4
	s_getreg_b32 s6, hwreg(HW_REG_IB_STS2, 6, 4)
	s_add_co_i32 s5, s5, s4
	s_cmp_eq_u32 s6, 0
	v_and_b32_e32 v8, 0x600, v1
	v_dual_mov_b32 v1, -1 :: v_dual_lshrrev_b32 v0, 6, v0
	s_cselect_b32 s4, ttmp9, s5
	s_delay_alu instid0(SALU_CYCLE_1) | instskip(NEXT) | instid1(VALU_DEP_2)
	s_lshl_b32 s4, s4, 2
	v_lshl_or_b32 v23, v8, 2, 0x2000
	s_delay_alu instid0(VALU_DEP_2) | instskip(NEXT) | instid1(VALU_DEP_2)
	v_and_or_b32 v0, 0x3fffffc, s4, v0
	v_lshl_or_b32 v6, v22, 2, v23
	s_wait_kmcnt 0x0
	s_delay_alu instid0(VALU_DEP_2)
	v_cmp_gt_i32_e32 vcc_lo, s2, v0
	ds_store_2addr_stride64_b32 v6, v1, v1 offset1:1
	ds_store_2addr_stride64_b32 v6, v1, v1 offset0:2 offset1:3
	ds_store_2addr_stride64_b32 v6, v1, v1 offset0:4 offset1:5
	;; [unrolled: 1-line block ×3, first 2 shown]
	s_wait_storecnt 0x0
	s_wait_loadcnt_dscnt 0x0
	s_and_saveexec_b32 s2, vcc_lo
	s_cbranch_execz .LBB49_85
; %bb.8:
	s_load_b512 s[4:19], s[0:1], 0x8
	v_lshlrev_b32_e32 v24, 2, v8
	s_mov_b32 s2, exec_lo
	s_wait_kmcnt 0x0
	global_load_b32 v0, v0, s[14:15] scale_offset
	s_wait_loadcnt 0x0
	v_ashrrev_i32_e32 v1, 31, v0
	s_delay_alu instid0(VALU_DEP_1)
	v_lshl_add_u64 v[6:7], v[0:1], 2, s[4:5]
	global_load_b64 v[10:11], v[6:7], off
	global_load_b32 v16, v0, s[10:11] scale_offset
	s_wait_loadcnt 0x1
	v_subrev_nc_u32_e32 v18, s28, v10
	v_subrev_nc_u32_e32 v6, s28, v11
	s_delay_alu instid0(VALU_DEP_2) | instskip(SKIP_1) | instid1(VALU_DEP_1)
	v_add_nc_u32_e32 v7, v18, v22
	s_wait_xcnt 0x0
	v_cmpx_lt_i32_e64 v7, v6
	s_cbranch_execz .LBB49_31
; %bb.9:
	v_mov_b32_e32 v8, -1
	s_mov_b32 s14, 0
	s_branch .LBB49_11
.LBB49_10:                              ;   in Loop: Header=BB49_11 Depth=1
	s_or_b32 exec_lo, exec_lo, s15
	v_add_nc_u32_e32 v7, 64, v7
	s_delay_alu instid0(VALU_DEP_1) | instskip(SKIP_1) | instid1(SALU_CYCLE_1)
	v_cmp_ge_i32_e32 vcc_lo, v7, v6
	s_or_b32 s14, vcc_lo, s14
	s_and_not1_b32 exec_lo, exec_lo, s14
	s_cbranch_execz .LBB49_31
.LBB49_11:                              ; =>This Loop Header: Depth=1
                                        ;     Child Loop BB49_20 Depth 2
	global_load_b32 v9, v7, s[6:7] scale_offset
	v_mov_b32_e32 v10, 0x200
	s_mov_b32 s15, 0
                                        ; implicit-def: $sgpr22
                                        ; implicit-def: $sgpr23
                                        ; implicit-def: $sgpr24
	s_wait_loadcnt 0x0
	v_mul_lo_u32 v12, 0x67, v9
	s_branch .LBB49_20
.LBB49_12:                              ;   in Loop: Header=BB49_20 Depth=2
	s_or_b32 exec_lo, exec_lo, s36
	s_delay_alu instid0(SALU_CYCLE_1)
	s_or_not1_b32 s34, s34, exec_lo
	s_or_not1_b32 s35, s35, exec_lo
.LBB49_13:                              ;   in Loop: Header=BB49_20 Depth=2
	s_or_b32 exec_lo, exec_lo, s33
	s_delay_alu instid0(SALU_CYCLE_1)
	s_and_b32 s34, s34, exec_lo
	s_or_not1_b32 s33, s35, exec_lo
.LBB49_14:                              ;   in Loop: Header=BB49_20 Depth=2
	s_or_b32 exec_lo, exec_lo, s31
	s_delay_alu instid0(SALU_CYCLE_1)
	s_or_not1_b32 s31, s34, exec_lo
	s_or_not1_b32 s33, s33, exec_lo
.LBB49_15:                              ;   in Loop: Header=BB49_20 Depth=2
	s_or_b32 exec_lo, exec_lo, s30
	s_delay_alu instid0(SALU_CYCLE_1)
	s_and_b32 s31, s31, exec_lo
	s_or_not1_b32 s30, s33, exec_lo
.LBB49_16:                              ;   in Loop: Header=BB49_20 Depth=2
	s_or_b32 exec_lo, exec_lo, s29
	s_delay_alu instid0(SALU_CYCLE_1)
	s_or_not1_b32 s29, s31, exec_lo
	s_or_not1_b32 s30, s30, exec_lo
.LBB49_17:                              ;   in Loop: Header=BB49_20 Depth=2
	s_or_b32 exec_lo, exec_lo, s27
	s_delay_alu instid0(SALU_CYCLE_1)
	s_and_b32 s29, s29, exec_lo
	s_or_not1_b32 s27, s30, exec_lo
.LBB49_18:                              ;   in Loop: Header=BB49_20 Depth=2
	s_or_b32 exec_lo, exec_lo, s26
	s_delay_alu instid0(SALU_CYCLE_1)
	s_and_not1_b32 s24, s24, exec_lo
	s_and_b32 s26, s29, exec_lo
	s_and_not1_b32 s23, s23, exec_lo
	s_and_b32 s27, s27, exec_lo
	s_or_b32 s24, s24, s26
	s_or_b32 s23, s23, s27
.LBB49_19:                              ;   in Loop: Header=BB49_20 Depth=2
	s_or_b32 exec_lo, exec_lo, s25
	s_delay_alu instid0(SALU_CYCLE_1) | instskip(NEXT) | instid1(SALU_CYCLE_1)
	s_and_b32 s25, exec_lo, s23
	s_or_b32 s15, s25, s15
	s_and_not1_b32 s22, s22, exec_lo
	s_and_b32 s25, s24, exec_lo
	s_delay_alu instid0(SALU_CYCLE_1)
	s_or_b32 s22, s22, s25
	s_and_not1_b32 exec_lo, exec_lo, s15
	s_cbranch_execz .LBB49_29
.LBB49_20:                              ;   Parent Loop BB49_11 Depth=1
                                        ; =>  This Inner Loop Header: Depth=2
	s_delay_alu instid0(VALU_DEP_1) | instskip(SKIP_3) | instid1(VALU_DEP_1)
	v_and_b32_e32 v11, 0x1ff, v12
	s_or_b32 s24, s24, exec_lo
	s_or_b32 s23, s23, exec_lo
	s_mov_b32 s25, exec_lo
	v_lshl_add_u32 v13, v11, 2, v23
	ds_load_b32 v19, v13
	s_wait_dscnt 0x0
	s_wait_xcnt 0x0
	v_cmpx_ne_u32_e64 v19, v9
	s_cbranch_execz .LBB49_19
; %bb.21:                               ;   in Loop: Header=BB49_20 Depth=2
	ds_cmpstore_rtn_b32 v13, v13, v9, v8
	s_mov_b32 s27, -1
	s_mov_b32 s29, 0
	s_mov_b32 s26, exec_lo
	s_wait_dscnt 0x0
	v_cmpx_ne_u32_e32 -1, v13
	s_cbranch_execz .LBB49_18
; %bb.22:                               ;   in Loop: Header=BB49_20 Depth=2
	v_add_nc_u32_e32 v11, 1, v12
	s_mov_b32 s30, -1
	s_mov_b32 s29, -1
	s_mov_b32 s27, exec_lo
	s_delay_alu instid0(VALU_DEP_1) | instskip(NEXT) | instid1(VALU_DEP_1)
	v_and_b32_e32 v11, 0x1ff, v11
	v_lshl_add_u32 v13, v11, 2, v23
	ds_load_b32 v19, v13
	s_wait_dscnt 0x0
	v_cmpx_ne_u32_e64 v19, v9
	s_cbranch_execz .LBB49_17
; %bb.23:                               ;   in Loop: Header=BB49_20 Depth=2
	ds_cmpstore_rtn_b32 v13, v13, v9, v8
	s_mov_b32 s31, 0
	s_mov_b32 s29, exec_lo
	s_wait_dscnt 0x0
	v_cmpx_ne_u32_e32 -1, v13
	s_cbranch_execz .LBB49_16
; %bb.24:                               ;   in Loop: Header=BB49_20 Depth=2
	v_add_nc_u32_e32 v11, 2, v12
	s_mov_b32 s33, -1
	s_mov_b32 s31, -1
	s_mov_b32 s30, exec_lo
	s_delay_alu instid0(VALU_DEP_1) | instskip(NEXT) | instid1(VALU_DEP_1)
	v_and_b32_e32 v11, 0x1ff, v11
	v_lshl_add_u32 v13, v11, 2, v23
	ds_load_b32 v19, v13
	s_wait_dscnt 0x0
	v_cmpx_ne_u32_e64 v19, v9
	s_cbranch_execz .LBB49_15
; %bb.25:                               ;   in Loop: Header=BB49_20 Depth=2
	ds_cmpstore_rtn_b32 v13, v13, v9, v8
	s_mov_b32 s34, 0
	s_mov_b32 s31, exec_lo
	s_wait_dscnt 0x0
	v_cmpx_ne_u32_e32 -1, v13
	s_cbranch_execz .LBB49_14
; %bb.26:                               ;   in Loop: Header=BB49_20 Depth=2
	v_add_nc_u32_e32 v11, 3, v12
	s_mov_b32 s35, -1
	s_mov_b32 s34, -1
	s_delay_alu instid0(VALU_DEP_1) | instskip(NEXT) | instid1(VALU_DEP_1)
	v_and_b32_e32 v11, 0x1ff, v11
	v_lshl_add_u32 v13, v11, 2, v23
	ds_load_b32 v12, v13
	s_wait_dscnt 0x0
	v_cmp_ne_u32_e32 vcc_lo, v12, v9
                                        ; implicit-def: $vgpr12
	s_and_saveexec_b32 s33, vcc_lo
	s_cbranch_execz .LBB49_13
; %bb.27:                               ;   in Loop: Header=BB49_20 Depth=2
	ds_cmpstore_rtn_b32 v12, v13, v9, v8
	s_mov_b32 s34, 0
	s_wait_dscnt 0x0
	v_cmp_ne_u32_e32 vcc_lo, -1, v12
                                        ; implicit-def: $vgpr12
	s_and_saveexec_b32 s36, vcc_lo
	s_cbranch_execz .LBB49_12
; %bb.28:                               ;   in Loop: Header=BB49_20 Depth=2
	v_dual_add_nc_u32 v10, -4, v10 :: v_dual_add_nc_u32 v12, 1, v11
	s_mov_b32 s34, exec_lo
	s_delay_alu instid0(VALU_DEP_1)
	v_cmp_eq_u32_e32 vcc_lo, 0, v10
	s_or_not1_b32 s35, vcc_lo, exec_lo
	s_branch .LBB49_12
.LBB49_29:                              ;   in Loop: Header=BB49_11 Depth=1
	s_or_b32 exec_lo, exec_lo, s15
	s_xor_b32 s15, s22, -1
	s_delay_alu instid0(SALU_CYCLE_1) | instskip(NEXT) | instid1(SALU_CYCLE_1)
	s_and_saveexec_b32 s22, s15
	s_xor_b32 s15, exec_lo, s22
	s_cbranch_execz .LBB49_10
; %bb.30:                               ;   in Loop: Header=BB49_11 Depth=1
	v_lshl_add_u32 v9, v11, 2, v24
	ds_store_b32 v9, v7
	s_branch .LBB49_10
.LBB49_31:
	s_or_b32 exec_lo, exec_lo, s2
	s_delay_alu instid0(SALU_CYCLE_1)
	s_mov_b32 s14, exec_lo
	s_wait_loadcnt_dscnt 0x0
	v_cmpx_lt_i32_e64 v18, v16
	s_cbranch_execz .LBB49_61
; %bb.32:
	v_add_nc_u32_e32 v25, 1, v22
	s_mov_b32 s15, 0
	s_branch .LBB49_35
.LBB49_33:                              ;   in Loop: Header=BB49_35 Depth=1
	s_or_b32 exec_lo, exec_lo, s22
	v_add_nc_u32_e32 v18, 1, v18
	s_delay_alu instid0(VALU_DEP_1)
	v_cmp_ge_i32_e32 vcc_lo, v18, v16
	s_or_not1_b32 s22, vcc_lo, exec_lo
.LBB49_34:                              ;   in Loop: Header=BB49_35 Depth=1
	s_or_b32 exec_lo, exec_lo, s2
	s_delay_alu instid0(SALU_CYCLE_1) | instskip(NEXT) | instid1(SALU_CYCLE_1)
	s_and_b32 s2, exec_lo, s22
	s_or_b32 s15, s2, s15
	s_delay_alu instid0(SALU_CYCLE_1)
	s_and_not1_b32 exec_lo, exec_lo, s15
	s_cbranch_execz .LBB49_61
.LBB49_35:                              ; =>This Loop Header: Depth=1
                                        ;     Child Loop BB49_36 Depth 2
                                        ;     Child Loop BB49_41 Depth 2
                                        ;       Child Loop BB49_50 Depth 3
	s_clause 0x1
	global_load_b32 v10, v18, s[6:7] scale_offset
	global_load_b128 v[6:9], v18, s[8:9] scale_offset
	v_ashrrev_i32_e32 v19, 31, v18
	s_mov_b32 s2, 0
	s_delay_alu instid0(VALU_DEP_1)
	v_lshl_add_u64 v[20:21], v[18:19], 4, s[8:9]
	s_wait_loadcnt 0x1
	v_subrev_nc_u32_e32 v10, s28, v10
	s_clause 0x1
	global_load_b32 v13, v10, s[4:5] offset:4 scale_offset
	global_load_b32 v12, v10, s[10:11] scale_offset
	v_ashrrev_i32_e32 v11, 31, v10
	s_wait_xcnt 0x0
	s_delay_alu instid0(VALU_DEP_1)
	v_lshl_add_u64 v[10:11], v[10:11], 2, s[12:13]
.LBB49_36:                              ;   Parent Loop BB49_35 Depth=1
                                        ; =>  This Inner Loop Header: Depth=2
	global_load_b32 v19, v[10:11], off scope:SCOPE_DEV
	s_wait_loadcnt 0x0
	v_cmp_ne_u32_e32 vcc_lo, 0, v19
	s_or_b32 s2, vcc_lo, s2
	s_wait_xcnt 0x0
	s_and_not1_b32 exec_lo, exec_lo, s2
	s_cbranch_execnz .LBB49_36
; %bb.37:                               ;   in Loop: Header=BB49_35 Depth=1
	s_or_b32 exec_lo, exec_lo, s2
	v_subrev_nc_u32_e32 v19, s28, v13
	v_cmp_eq_u32_e32 vcc_lo, -1, v12
	global_inv scope:SCOPE_DEV
	s_mov_b32 s22, -1
	v_add_nc_u32_e32 v10, -1, v19
	s_delay_alu instid0(VALU_DEP_1)
	v_cndmask_b32_e32 v26, v12, v10, vcc_lo
	global_load_b128 v[10:13], v26, s[8:9] scale_offset
	s_wait_loadcnt 0x0
	v_cmp_neq_f64_e32 vcc_lo, 0, v[10:11]
	v_cmp_neq_f64_e64 s2, 0, v[12:13]
	s_or_b32 s23, vcc_lo, s2
	s_wait_xcnt 0x0
	s_and_saveexec_b32 s2, s23
	s_cbranch_execz .LBB49_34
; %bb.38:                               ;   in Loop: Header=BB49_35 Depth=1
	v_mul_f64_e32 v[28:29], v[12:13], v[12:13]
	s_mov_b32 s22, exec_lo
	s_delay_alu instid0(VALU_DEP_1) | instskip(NEXT) | instid1(VALU_DEP_1)
	v_fmac_f64_e32 v[28:29], v[10:11], v[10:11]
	v_div_scale_f64 v[30:31], null, v[28:29], v[28:29], 1.0
	v_div_scale_f64 v[36:37], vcc_lo, 1.0, v[28:29], 1.0
	s_delay_alu instid0(VALU_DEP_2) | instskip(SKIP_1) | instid1(TRANS32_DEP_1)
	v_rcp_f64_e32 v[32:33], v[30:31]
	v_nop
	v_fma_f64 v[34:35], -v[30:31], v[32:33], 1.0
	s_delay_alu instid0(VALU_DEP_1) | instskip(NEXT) | instid1(VALU_DEP_1)
	v_fmac_f64_e32 v[32:33], v[32:33], v[34:35]
	v_fma_f64 v[34:35], -v[30:31], v[32:33], 1.0
	s_delay_alu instid0(VALU_DEP_1) | instskip(NEXT) | instid1(VALU_DEP_1)
	v_fmac_f64_e32 v[32:33], v[32:33], v[34:35]
	v_mul_f64_e32 v[34:35], v[36:37], v[32:33]
	s_delay_alu instid0(VALU_DEP_1) | instskip(SKIP_2) | instid1(VALU_DEP_3)
	v_fma_f64 v[30:31], -v[30:31], v[34:35], v[36:37]
	v_mul_f64_e32 v[36:37], v[8:9], v[12:13]
	v_mul_f64_e64 v[12:13], v[12:13], -v[6:7]
	v_div_fmas_f64 v[30:31], v[30:31], v[32:33], v[34:35]
	s_delay_alu instid0(VALU_DEP_3) | instskip(NEXT) | instid1(VALU_DEP_3)
	v_fmac_f64_e32 v[36:37], v[6:7], v[10:11]
	v_fmac_f64_e32 v[12:13], v[8:9], v[10:11]
	v_add_nc_u32_e32 v10, v25, v26
	s_delay_alu instid0(VALU_DEP_4) | instskip(NEXT) | instid1(VALU_DEP_1)
	v_div_fixup_f64 v[28:29], v[30:31], v[28:29], 1.0
	v_mul_f64_e32 v[6:7], v[36:37], v[28:29]
	s_delay_alu instid0(VALU_DEP_4)
	v_mul_f64_e32 v[8:9], v[12:13], v[28:29]
	global_store_b128 v[20:21], v[6:9], off
	s_wait_xcnt 0x0
	v_cmpx_lt_i32_e64 v10, v19
	s_cbranch_execz .LBB49_33
; %bb.39:                               ;   in Loop: Header=BB49_35 Depth=1
	s_mov_b32 s23, 0
	s_branch .LBB49_41
.LBB49_40:                              ;   in Loop: Header=BB49_41 Depth=2
	s_wait_xcnt 0x0
	s_or_b32 exec_lo, exec_lo, s24
	v_add_nc_u32_e32 v10, 64, v10
	s_delay_alu instid0(VALU_DEP_1) | instskip(SKIP_1) | instid1(SALU_CYCLE_1)
	v_cmp_ge_i32_e32 vcc_lo, v10, v19
	s_or_b32 s23, vcc_lo, s23
	s_and_not1_b32 exec_lo, exec_lo, s23
	s_cbranch_execz .LBB49_33
.LBB49_41:                              ;   Parent Loop BB49_35 Depth=1
                                        ; =>  This Loop Header: Depth=2
                                        ;       Child Loop BB49_50 Depth 3
	global_load_b32 v12, v10, s[6:7] scale_offset
	v_ashrrev_i32_e32 v11, 31, v10
	v_mov_b32_e32 v13, 0x200
	s_mov_b32 s24, 0
                                        ; implicit-def: $sgpr25
                                        ; implicit-def: $sgpr26
                                        ; implicit-def: $sgpr27
	s_wait_loadcnt 0x0
	v_mul_lo_u32 v21, 0x67, v12
	s_branch .LBB49_50
.LBB49_42:                              ;   in Loop: Header=BB49_50 Depth=3
	s_or_b32 exec_lo, exec_lo, s39
	s_delay_alu instid0(SALU_CYCLE_1)
	s_or_not1_b32 s37, s37, exec_lo
	s_or_not1_b32 s38, s38, exec_lo
.LBB49_43:                              ;   in Loop: Header=BB49_50 Depth=3
	s_or_b32 exec_lo, exec_lo, s36
	s_delay_alu instid0(SALU_CYCLE_1)
	s_and_b32 s37, s37, exec_lo
	s_or_not1_b32 s36, s38, exec_lo
.LBB49_44:                              ;   in Loop: Header=BB49_50 Depth=3
	s_or_b32 exec_lo, exec_lo, s35
	s_delay_alu instid0(SALU_CYCLE_1)
	s_or_not1_b32 s35, s37, exec_lo
	s_or_not1_b32 s36, s36, exec_lo
.LBB49_45:                              ;   in Loop: Header=BB49_50 Depth=3
	s_or_b32 exec_lo, exec_lo, s34
	s_delay_alu instid0(SALU_CYCLE_1)
	s_and_b32 s35, s35, exec_lo
	s_or_not1_b32 s34, s36, exec_lo
.LBB49_46:                              ;   in Loop: Header=BB49_50 Depth=3
	s_or_b32 exec_lo, exec_lo, s33
	s_delay_alu instid0(SALU_CYCLE_1)
	s_or_not1_b32 s33, s35, exec_lo
	s_or_not1_b32 s34, s34, exec_lo
.LBB49_47:                              ;   in Loop: Header=BB49_50 Depth=3
	s_or_b32 exec_lo, exec_lo, s31
	s_delay_alu instid0(SALU_CYCLE_1)
	s_and_b32 s33, s33, exec_lo
	s_or_not1_b32 s31, s34, exec_lo
.LBB49_48:                              ;   in Loop: Header=BB49_50 Depth=3
	s_or_b32 exec_lo, exec_lo, s30
	s_delay_alu instid0(SALU_CYCLE_1)
	s_and_not1_b32 s27, s27, exec_lo
	s_and_b32 s30, s33, exec_lo
	s_and_not1_b32 s26, s26, exec_lo
	s_and_b32 s31, s31, exec_lo
	s_or_b32 s27, s27, s30
	s_or_b32 s26, s26, s31
.LBB49_49:                              ;   in Loop: Header=BB49_50 Depth=3
	s_or_b32 exec_lo, exec_lo, s29
	s_delay_alu instid0(SALU_CYCLE_1) | instskip(NEXT) | instid1(SALU_CYCLE_1)
	s_and_b32 s29, exec_lo, s26
	s_or_b32 s24, s29, s24
	s_and_not1_b32 s25, s25, exec_lo
	s_and_b32 s29, s27, exec_lo
	s_delay_alu instid0(SALU_CYCLE_1)
	s_or_b32 s25, s25, s29
	s_and_not1_b32 exec_lo, exec_lo, s24
	s_cbranch_execz .LBB49_59
.LBB49_50:                              ;   Parent Loop BB49_35 Depth=1
                                        ;     Parent Loop BB49_41 Depth=2
                                        ; =>    This Inner Loop Header: Depth=3
	s_delay_alu instid0(VALU_DEP_1) | instskip(SKIP_3) | instid1(VALU_DEP_1)
	v_and_b32_e32 v20, 0x1ff, v21
	s_or_b32 s27, s27, exec_lo
	s_or_b32 s26, s26, exec_lo
	s_mov_b32 s29, exec_lo
	v_lshl_add_u32 v26, v20, 2, v23
	ds_load_b32 v26, v26
	s_wait_dscnt 0x0
	s_wait_xcnt 0x0
	v_cmpx_ne_u32_e32 -1, v26
	s_cbranch_execz .LBB49_49
; %bb.51:                               ;   in Loop: Header=BB49_50 Depth=3
	s_mov_b32 s31, -1
	s_mov_b32 s33, 0
	s_mov_b32 s30, exec_lo
	v_cmpx_ne_u32_e64 v26, v12
	s_cbranch_execz .LBB49_48
; %bb.52:                               ;   in Loop: Header=BB49_50 Depth=3
	v_add_nc_u32_e32 v20, 1, v21
	s_mov_b32 s34, -1
	s_mov_b32 s33, -1
	s_mov_b32 s31, exec_lo
	s_delay_alu instid0(VALU_DEP_1) | instskip(NEXT) | instid1(VALU_DEP_1)
	v_and_b32_e32 v20, 0x1ff, v20
	v_lshl_add_u32 v26, v20, 2, v23
	ds_load_b32 v26, v26
	s_wait_dscnt 0x0
	v_cmpx_ne_u32_e32 -1, v26
	s_cbranch_execz .LBB49_47
; %bb.53:                               ;   in Loop: Header=BB49_50 Depth=3
	s_mov_b32 s35, 0
	s_mov_b32 s33, exec_lo
	v_cmpx_ne_u32_e64 v26, v12
	s_cbranch_execz .LBB49_46
; %bb.54:                               ;   in Loop: Header=BB49_50 Depth=3
	v_add_nc_u32_e32 v20, 2, v21
	s_mov_b32 s36, -1
	s_mov_b32 s35, -1
	s_mov_b32 s34, exec_lo
	s_delay_alu instid0(VALU_DEP_1) | instskip(NEXT) | instid1(VALU_DEP_1)
	v_and_b32_e32 v20, 0x1ff, v20
	v_lshl_add_u32 v26, v20, 2, v23
	ds_load_b32 v26, v26
	s_wait_dscnt 0x0
	v_cmpx_ne_u32_e32 -1, v26
	s_cbranch_execz .LBB49_45
; %bb.55:                               ;   in Loop: Header=BB49_50 Depth=3
	s_mov_b32 s37, 0
	s_mov_b32 s35, exec_lo
	v_cmpx_ne_u32_e64 v26, v12
	s_cbranch_execz .LBB49_44
; %bb.56:                               ;   in Loop: Header=BB49_50 Depth=3
	v_add_nc_u32_e32 v20, 3, v21
	s_mov_b32 s38, -1
	s_mov_b32 s37, -1
	s_mov_b32 s36, exec_lo
	s_delay_alu instid0(VALU_DEP_1) | instskip(NEXT) | instid1(VALU_DEP_1)
	v_and_b32_e32 v20, 0x1ff, v20
	v_lshl_add_u32 v21, v20, 2, v23
	ds_load_b32 v26, v21
                                        ; implicit-def: $vgpr21
	s_wait_dscnt 0x0
	v_cmpx_ne_u32_e32 -1, v26
	s_cbranch_execz .LBB49_43
; %bb.57:                               ;   in Loop: Header=BB49_50 Depth=3
	s_mov_b32 s37, 0
	s_mov_b32 s39, exec_lo
                                        ; implicit-def: $vgpr21
	v_cmpx_ne_u32_e64 v26, v12
	s_cbranch_execz .LBB49_42
; %bb.58:                               ;   in Loop: Header=BB49_50 Depth=3
	v_dual_add_nc_u32 v13, -4, v13 :: v_dual_add_nc_u32 v21, 1, v20
	s_mov_b32 s37, exec_lo
	s_delay_alu instid0(VALU_DEP_1)
	v_cmp_eq_u32_e32 vcc_lo, 0, v13
	s_or_not1_b32 s38, vcc_lo, exec_lo
	s_branch .LBB49_42
.LBB49_59:                              ;   in Loop: Header=BB49_41 Depth=2
	s_or_b32 exec_lo, exec_lo, s24
	s_xor_b32 s24, s25, -1
	s_delay_alu instid0(SALU_CYCLE_1) | instskip(NEXT) | instid1(SALU_CYCLE_1)
	s_and_saveexec_b32 s25, s24
	s_xor_b32 s24, exec_lo, s25
	s_cbranch_execz .LBB49_40
; %bb.60:                               ;   in Loop: Header=BB49_41 Depth=2
	v_lshl_add_u32 v12, v20, 2, v24
	ds_load_b32 v20, v12
	v_lshl_add_u64 v[12:13], v[10:11], 4, s[8:9]
	global_load_b128 v[26:29], v[12:13], off
	s_wait_dscnt 0x0
	global_load_b128 v[30:33], v20, s[8:9] scale_offset
	s_wait_loadcnt 0x0
	v_fma_f64 v[30:31], -v[6:7], v[26:27], v[30:31]
	s_wait_xcnt 0x1
	v_fma_f64 v[12:13], -v[8:9], v[26:27], v[32:33]
	s_delay_alu instid0(VALU_DEP_2) | instskip(NEXT) | instid1(VALU_DEP_2)
	v_fmac_f64_e32 v[30:31], v[8:9], v[28:29]
	v_fma_f64 v[32:33], -v[6:7], v[28:29], v[12:13]
	global_store_b128 v20, v[30:33], s[8:9] scale_offset
	s_branch .LBB49_40
.LBB49_61:
	s_or_b32 exec_lo, exec_lo, s14
	s_delay_alu instid0(SALU_CYCLE_1)
	s_mov_b32 s4, exec_lo
	s_wait_storecnt 0x0
	v_cmpx_lt_i32_e32 -1, v16
	s_cbranch_execz .LBB49_83
; %bb.62:
	global_load_b128 v[6:9], v16, s[8:9] scale_offset
	s_mov_b32 s2, exec_lo
                                        ; implicit-def: $vgpr18_vgpr19
	s_wait_loadcnt 0x0
	v_cmp_gt_f64_e32 vcc_lo, 0, v[6:7]
	v_xor_b32_e32 v11, 0x80000000, v7
	v_mov_b32_e32 v10, v6
	v_xor_b32_e32 v12, 0x80000000, v9
	s_delay_alu instid0(VALU_DEP_3) | instskip(SKIP_1) | instid1(VALU_DEP_3)
	v_cndmask_b32_e32 v11, v7, v11, vcc_lo
	v_cmp_gt_f64_e32 vcc_lo, 0, v[8:9]
	v_dual_cndmask_b32 v13, v9, v12 :: v_dual_mov_b32 v12, v8
	s_delay_alu instid0(VALU_DEP_1)
	v_cmpx_ngt_f64_e32 v[10:11], v[12:13]
	s_xor_b32 s2, exec_lo, s2
	s_cbranch_execz .LBB49_66
; %bb.63:
	v_mov_b64_e32 v[18:19], 0
	s_mov_b32 s5, exec_lo
	v_cmpx_neq_f64_e32 0, v[8:9]
	s_cbranch_execz .LBB49_65
; %bb.64:
	v_div_scale_f64 v[18:19], null, v[12:13], v[12:13], v[10:11]
	v_div_scale_f64 v[26:27], vcc_lo, v[10:11], v[12:13], v[10:11]
	s_delay_alu instid0(VALU_DEP_2) | instskip(SKIP_1) | instid1(TRANS32_DEP_1)
	v_rcp_f64_e32 v[20:21], v[18:19]
	v_nop
	v_fma_f64 v[24:25], -v[18:19], v[20:21], 1.0
	s_delay_alu instid0(VALU_DEP_1) | instskip(NEXT) | instid1(VALU_DEP_1)
	v_fmac_f64_e32 v[20:21], v[20:21], v[24:25]
	v_fma_f64 v[24:25], -v[18:19], v[20:21], 1.0
	s_delay_alu instid0(VALU_DEP_1) | instskip(NEXT) | instid1(VALU_DEP_1)
	v_fmac_f64_e32 v[20:21], v[20:21], v[24:25]
	v_mul_f64_e32 v[24:25], v[26:27], v[20:21]
	s_delay_alu instid0(VALU_DEP_1) | instskip(NEXT) | instid1(VALU_DEP_1)
	v_fma_f64 v[18:19], -v[18:19], v[24:25], v[26:27]
	v_div_fmas_f64 v[18:19], v[18:19], v[20:21], v[24:25]
	s_delay_alu instid0(VALU_DEP_1) | instskip(NEXT) | instid1(VALU_DEP_1)
	v_div_fixup_f64 v[10:11], v[18:19], v[12:13], v[10:11]
	v_fma_f64 v[10:11], v[10:11], v[10:11], 1.0
	s_delay_alu instid0(VALU_DEP_1) | instskip(SKIP_1) | instid1(VALU_DEP_1)
	v_cmp_gt_f64_e32 vcc_lo, 0x10000000, v[10:11]
	v_cndmask_b32_e64 v18, 0, 0x100, vcc_lo
	v_ldexp_f64 v[10:11], v[10:11], v18
	s_delay_alu instid0(VALU_DEP_1) | instskip(SKIP_1) | instid1(TRANS32_DEP_1)
	v_rsq_f64_e32 v[18:19], v[10:11]
	v_nop
	v_mul_f64_e32 v[20:21], v[10:11], v[18:19]
	v_mul_f64_e32 v[18:19], 0.5, v[18:19]
	s_delay_alu instid0(VALU_DEP_1) | instskip(NEXT) | instid1(VALU_DEP_1)
	v_fma_f64 v[24:25], -v[18:19], v[20:21], 0.5
	v_fmac_f64_e32 v[20:21], v[20:21], v[24:25]
	v_fmac_f64_e32 v[18:19], v[18:19], v[24:25]
	s_delay_alu instid0(VALU_DEP_2) | instskip(NEXT) | instid1(VALU_DEP_1)
	v_fma_f64 v[24:25], -v[20:21], v[20:21], v[10:11]
	v_fmac_f64_e32 v[20:21], v[24:25], v[18:19]
	s_delay_alu instid0(VALU_DEP_1) | instskip(NEXT) | instid1(VALU_DEP_1)
	v_fma_f64 v[24:25], -v[20:21], v[20:21], v[10:11]
	v_fmac_f64_e32 v[20:21], v[24:25], v[18:19]
	v_cndmask_b32_e64 v18, 0, 0xffffff80, vcc_lo
	v_cmp_class_f64_e64 vcc_lo, v[10:11], 0x260
	s_delay_alu instid0(VALU_DEP_2) | instskip(NEXT) | instid1(VALU_DEP_1)
	v_ldexp_f64 v[18:19], v[20:21], v18
	v_dual_cndmask_b32 v11, v19, v11 :: v_dual_cndmask_b32 v10, v18, v10
	s_delay_alu instid0(VALU_DEP_1)
	v_mul_f64_e32 v[18:19], v[12:13], v[10:11]
.LBB49_65:
	s_or_b32 exec_lo, exec_lo, s5
                                        ; implicit-def: $vgpr10_vgpr11
                                        ; implicit-def: $vgpr12_vgpr13
.LBB49_66:
	s_and_not1_saveexec_b32 s2, s2
	s_cbranch_execz .LBB49_68
; %bb.67:
	v_div_scale_f64 v[18:19], null, v[10:11], v[10:11], v[12:13]
	v_div_scale_f64 v[26:27], vcc_lo, v[12:13], v[10:11], v[12:13]
	s_delay_alu instid0(VALU_DEP_2) | instskip(SKIP_1) | instid1(TRANS32_DEP_1)
	v_rcp_f64_e32 v[20:21], v[18:19]
	v_nop
	v_fma_f64 v[24:25], -v[18:19], v[20:21], 1.0
	s_delay_alu instid0(VALU_DEP_1) | instskip(NEXT) | instid1(VALU_DEP_1)
	v_fmac_f64_e32 v[20:21], v[20:21], v[24:25]
	v_fma_f64 v[24:25], -v[18:19], v[20:21], 1.0
	s_delay_alu instid0(VALU_DEP_1) | instskip(NEXT) | instid1(VALU_DEP_1)
	v_fmac_f64_e32 v[20:21], v[20:21], v[24:25]
	v_mul_f64_e32 v[24:25], v[26:27], v[20:21]
	s_delay_alu instid0(VALU_DEP_1) | instskip(NEXT) | instid1(VALU_DEP_1)
	v_fma_f64 v[18:19], -v[18:19], v[24:25], v[26:27]
	v_div_fmas_f64 v[18:19], v[18:19], v[20:21], v[24:25]
	s_delay_alu instid0(VALU_DEP_1) | instskip(NEXT) | instid1(VALU_DEP_1)
	v_div_fixup_f64 v[12:13], v[18:19], v[10:11], v[12:13]
	v_fma_f64 v[12:13], v[12:13], v[12:13], 1.0
	s_delay_alu instid0(VALU_DEP_1) | instskip(SKIP_1) | instid1(VALU_DEP_1)
	v_cmp_gt_f64_e32 vcc_lo, 0x10000000, v[12:13]
	v_cndmask_b32_e64 v18, 0, 0x100, vcc_lo
	v_ldexp_f64 v[12:13], v[12:13], v18
	s_delay_alu instid0(VALU_DEP_1) | instskip(SKIP_1) | instid1(TRANS32_DEP_1)
	v_rsq_f64_e32 v[18:19], v[12:13]
	v_nop
	v_mul_f64_e32 v[20:21], v[12:13], v[18:19]
	v_mul_f64_e32 v[18:19], 0.5, v[18:19]
	s_delay_alu instid0(VALU_DEP_1) | instskip(NEXT) | instid1(VALU_DEP_1)
	v_fma_f64 v[24:25], -v[18:19], v[20:21], 0.5
	v_fmac_f64_e32 v[20:21], v[20:21], v[24:25]
	v_fmac_f64_e32 v[18:19], v[18:19], v[24:25]
	s_delay_alu instid0(VALU_DEP_2) | instskip(NEXT) | instid1(VALU_DEP_1)
	v_fma_f64 v[24:25], -v[20:21], v[20:21], v[12:13]
	v_fmac_f64_e32 v[20:21], v[24:25], v[18:19]
	s_delay_alu instid0(VALU_DEP_1) | instskip(NEXT) | instid1(VALU_DEP_1)
	v_fma_f64 v[24:25], -v[20:21], v[20:21], v[12:13]
	v_fmac_f64_e32 v[20:21], v[24:25], v[18:19]
	v_cndmask_b32_e64 v18, 0, 0xffffff80, vcc_lo
	v_cmp_class_f64_e64 vcc_lo, v[12:13], 0x260
	s_delay_alu instid0(VALU_DEP_2) | instskip(NEXT) | instid1(VALU_DEP_1)
	v_ldexp_f64 v[18:19], v[20:21], v18
	v_dual_cndmask_b32 v13, v19, v13 :: v_dual_cndmask_b32 v12, v18, v12
	s_delay_alu instid0(VALU_DEP_1)
	v_mul_f64_e32 v[18:19], v[10:11], v[12:13]
.LBB49_68:
	s_or_b32 exec_lo, exec_lo, s2
	v_cmp_ne_u32_e32 vcc_lo, 1, v17
	v_cmp_eq_u32_e64 s2, 0, v22
	s_mov_b32 s5, -1
	s_cbranch_vccnz .LBB49_72
; %bb.69:
	v_cvt_f64_f32_e32 v[10:11], s3
	s_cmp_eq_u64 s[20:21], 8
	s_cselect_b32 vcc_lo, -1, 0
	s_delay_alu instid0(VALU_DEP_1) | instskip(NEXT) | instid1(VALU_DEP_1)
	v_dual_cndmask_b32 v11, v11, v15 :: v_dual_cndmask_b32 v10, v10, v14
	v_cmp_le_f64_e32 vcc_lo, v[18:19], v[10:11]
	s_and_b32 s5, s2, vcc_lo
	s_delay_alu instid0(SALU_CYCLE_1)
	s_and_saveexec_b32 s3, s5
	s_cbranch_execz .LBB49_71
; %bb.70:
	v_mov_b32_e32 v17, 0
	s_delay_alu instid0(VALU_DEP_1)
	v_lshl_add_u64 v[10:11], v[16:17], 4, s[8:9]
	global_store_b128 v[10:11], v[2:5], off
	global_wb scope:SCOPE_DEV
	s_wait_storecnt 0x0
	global_inv scope:SCOPE_DEV
.LBB49_71:
	s_wait_xcnt 0x0
	s_or_b32 exec_lo, exec_lo, s3
	s_mov_b32 s5, 0
.LBB49_72:
	s_delay_alu instid0(SALU_CYCLE_1)
	s_and_not1_b32 vcc_lo, exec_lo, s5
	s_cbranch_vccnz .LBB49_83
; %bb.73:
	s_load_b64 s[0:1], s[0:1], 0x48
	v_add_nc_u32_e32 v2, s28, v0
	s_wait_kmcnt 0x0
	v_cmp_ge_f64_e32 vcc_lo, s[0:1], v[18:19]
	s_and_b32 s1, s2, vcc_lo
	s_delay_alu instid0(SALU_CYCLE_1)
	s_and_saveexec_b32 s0, s1
	s_cbranch_execz .LBB49_78
; %bb.74:
	s_mov_b32 s3, exec_lo
	s_brev_b32 s1, -2
.LBB49_75:                              ; =>This Inner Loop Header: Depth=1
	s_ctz_i32_b32 s5, s3
	s_delay_alu instid0(SALU_CYCLE_1) | instskip(SKIP_1) | instid1(SALU_CYCLE_1)
	v_readlane_b32 s6, v2, s5
	s_lshl_b32 s5, 1, s5
	s_and_not1_b32 s3, s3, s5
	s_min_i32 s1, s1, s6
	s_cmp_lg_u32 s3, 0
	s_cbranch_scc1 .LBB49_75
; %bb.76:
	v_mbcnt_lo_u32_b32 v3, exec_lo, 0
	s_mov_b32 s3, exec_lo
	s_delay_alu instid0(VALU_DEP_1)
	v_cmpx_eq_u32_e32 0, v3
	s_xor_b32 s3, exec_lo, s3
	s_cbranch_execz .LBB49_78
; %bb.77:
	v_dual_mov_b32 v3, 0 :: v_dual_mov_b32 v4, s1
	global_atomic_min_i32 v3, v4, s[18:19] scope:SCOPE_DEV
.LBB49_78:
	s_wait_xcnt 0x0
	s_or_b32 exec_lo, exec_lo, s0
	v_cmp_eq_f64_e32 vcc_lo, 0, v[6:7]
	v_cmp_eq_f64_e64 s0, 0, v[8:9]
	s_and_b32 s0, vcc_lo, s0
	s_delay_alu instid0(SALU_CYCLE_1) | instskip(NEXT) | instid1(SALU_CYCLE_1)
	s_and_b32 s0, s2, s0
	s_and_b32 exec_lo, exec_lo, s0
	s_cbranch_execz .LBB49_83
; %bb.79:
	s_mov_b32 s1, exec_lo
	s_brev_b32 s0, -2
.LBB49_80:                              ; =>This Inner Loop Header: Depth=1
	s_ctz_i32_b32 s2, s1
	s_delay_alu instid0(SALU_CYCLE_1) | instskip(SKIP_1) | instid1(SALU_CYCLE_1)
	v_readlane_b32 s3, v2, s2
	s_lshl_b32 s2, 1, s2
	s_and_not1_b32 s1, s1, s2
	s_min_i32 s0, s0, s3
	s_cmp_lg_u32 s1, 0
	s_cbranch_scc1 .LBB49_80
; %bb.81:
	v_mbcnt_lo_u32_b32 v2, exec_lo, 0
	s_mov_b32 s1, exec_lo
	s_delay_alu instid0(VALU_DEP_1)
	v_cmpx_eq_u32_e32 0, v2
	s_xor_b32 s1, exec_lo, s1
	s_cbranch_execz .LBB49_83
; %bb.82:
	v_dual_mov_b32 v2, 0 :: v_dual_mov_b32 v3, s0
	global_atomic_min_i32 v2, v3, s[16:17] scope:SCOPE_DEV
.LBB49_83:
	s_wait_xcnt 0x0
	s_or_b32 exec_lo, exec_lo, s4
	v_cmp_eq_u32_e32 vcc_lo, 0, v22
	global_wb scope:SCOPE_DEV
	s_wait_loadcnt 0x0
	s_wait_storecnt 0x0
	global_inv scope:SCOPE_DEV
	s_and_b32 exec_lo, exec_lo, vcc_lo
	s_cbranch_execz .LBB49_85
; %bb.84:
	v_lshl_add_u64 v[0:1], v[0:1], 2, s[12:13]
	v_mov_b32_e32 v2, 1
	global_wb scope:SCOPE_DEV
	s_wait_loadcnt 0x0
	s_wait_storecnt 0x0
	global_store_b32 v[0:1], v2, off scope:SCOPE_DEV
.LBB49_85:
	s_endpgm
	.section	.rodata,"a",@progbits
	.p2align	6, 0x0
	.amdhsa_kernel _ZN9rocsparseL12csrilu0_hashILj256ELj64ELj8E21rocsparse_complex_numIdEEEviPKiS4_PT2_S4_PiS4_S7_S7_d21rocsparse_index_base_imNS_24const_host_device_scalarIfEENS9_IdEENS9_IS5_EEb
		.amdhsa_group_segment_fixed_size 16384
		.amdhsa_private_segment_fixed_size 16
		.amdhsa_kernarg_size 132
		.amdhsa_user_sgpr_count 2
		.amdhsa_user_sgpr_dispatch_ptr 0
		.amdhsa_user_sgpr_queue_ptr 0
		.amdhsa_user_sgpr_kernarg_segment_ptr 1
		.amdhsa_user_sgpr_dispatch_id 0
		.amdhsa_user_sgpr_kernarg_preload_length 0
		.amdhsa_user_sgpr_kernarg_preload_offset 0
		.amdhsa_user_sgpr_private_segment_size 0
		.amdhsa_wavefront_size32 1
		.amdhsa_uses_dynamic_stack 0
		.amdhsa_enable_private_segment 1
		.amdhsa_system_sgpr_workgroup_id_x 1
		.amdhsa_system_sgpr_workgroup_id_y 0
		.amdhsa_system_sgpr_workgroup_id_z 0
		.amdhsa_system_sgpr_workgroup_info 0
		.amdhsa_system_vgpr_workitem_id 0
		.amdhsa_next_free_vgpr 38
		.amdhsa_next_free_sgpr 40
		.amdhsa_named_barrier_count 0
		.amdhsa_reserve_vcc 1
		.amdhsa_float_round_mode_32 0
		.amdhsa_float_round_mode_16_64 0
		.amdhsa_float_denorm_mode_32 3
		.amdhsa_float_denorm_mode_16_64 3
		.amdhsa_fp16_overflow 0
		.amdhsa_memory_ordered 1
		.amdhsa_forward_progress 1
		.amdhsa_inst_pref_size 29
		.amdhsa_round_robin_scheduling 0
		.amdhsa_exception_fp_ieee_invalid_op 0
		.amdhsa_exception_fp_denorm_src 0
		.amdhsa_exception_fp_ieee_div_zero 0
		.amdhsa_exception_fp_ieee_overflow 0
		.amdhsa_exception_fp_ieee_underflow 0
		.amdhsa_exception_fp_ieee_inexact 0
		.amdhsa_exception_int_div_zero 0
	.end_amdhsa_kernel
	.section	.text._ZN9rocsparseL12csrilu0_hashILj256ELj64ELj8E21rocsparse_complex_numIdEEEviPKiS4_PT2_S4_PiS4_S7_S7_d21rocsparse_index_base_imNS_24const_host_device_scalarIfEENS9_IdEENS9_IS5_EEb,"axG",@progbits,_ZN9rocsparseL12csrilu0_hashILj256ELj64ELj8E21rocsparse_complex_numIdEEEviPKiS4_PT2_S4_PiS4_S7_S7_d21rocsparse_index_base_imNS_24const_host_device_scalarIfEENS9_IdEENS9_IS5_EEb,comdat
.Lfunc_end49:
	.size	_ZN9rocsparseL12csrilu0_hashILj256ELj64ELj8E21rocsparse_complex_numIdEEEviPKiS4_PT2_S4_PiS4_S7_S7_d21rocsparse_index_base_imNS_24const_host_device_scalarIfEENS9_IdEENS9_IS5_EEb, .Lfunc_end49-_ZN9rocsparseL12csrilu0_hashILj256ELj64ELj8E21rocsparse_complex_numIdEEEviPKiS4_PT2_S4_PiS4_S7_S7_d21rocsparse_index_base_imNS_24const_host_device_scalarIfEENS9_IdEENS9_IS5_EEb
                                        ; -- End function
	.set _ZN9rocsparseL12csrilu0_hashILj256ELj64ELj8E21rocsparse_complex_numIdEEEviPKiS4_PT2_S4_PiS4_S7_S7_d21rocsparse_index_base_imNS_24const_host_device_scalarIfEENS9_IdEENS9_IS5_EEb.num_vgpr, 38
	.set _ZN9rocsparseL12csrilu0_hashILj256ELj64ELj8E21rocsparse_complex_numIdEEEviPKiS4_PT2_S4_PiS4_S7_S7_d21rocsparse_index_base_imNS_24const_host_device_scalarIfEENS9_IdEENS9_IS5_EEb.num_agpr, 0
	.set _ZN9rocsparseL12csrilu0_hashILj256ELj64ELj8E21rocsparse_complex_numIdEEEviPKiS4_PT2_S4_PiS4_S7_S7_d21rocsparse_index_base_imNS_24const_host_device_scalarIfEENS9_IdEENS9_IS5_EEb.numbered_sgpr, 40
	.set _ZN9rocsparseL12csrilu0_hashILj256ELj64ELj8E21rocsparse_complex_numIdEEEviPKiS4_PT2_S4_PiS4_S7_S7_d21rocsparse_index_base_imNS_24const_host_device_scalarIfEENS9_IdEENS9_IS5_EEb.num_named_barrier, 0
	.set _ZN9rocsparseL12csrilu0_hashILj256ELj64ELj8E21rocsparse_complex_numIdEEEviPKiS4_PT2_S4_PiS4_S7_S7_d21rocsparse_index_base_imNS_24const_host_device_scalarIfEENS9_IdEENS9_IS5_EEb.private_seg_size, 16
	.set _ZN9rocsparseL12csrilu0_hashILj256ELj64ELj8E21rocsparse_complex_numIdEEEviPKiS4_PT2_S4_PiS4_S7_S7_d21rocsparse_index_base_imNS_24const_host_device_scalarIfEENS9_IdEENS9_IS5_EEb.uses_vcc, 1
	.set _ZN9rocsparseL12csrilu0_hashILj256ELj64ELj8E21rocsparse_complex_numIdEEEviPKiS4_PT2_S4_PiS4_S7_S7_d21rocsparse_index_base_imNS_24const_host_device_scalarIfEENS9_IdEENS9_IS5_EEb.uses_flat_scratch, 0
	.set _ZN9rocsparseL12csrilu0_hashILj256ELj64ELj8E21rocsparse_complex_numIdEEEviPKiS4_PT2_S4_PiS4_S7_S7_d21rocsparse_index_base_imNS_24const_host_device_scalarIfEENS9_IdEENS9_IS5_EEb.has_dyn_sized_stack, 0
	.set _ZN9rocsparseL12csrilu0_hashILj256ELj64ELj8E21rocsparse_complex_numIdEEEviPKiS4_PT2_S4_PiS4_S7_S7_d21rocsparse_index_base_imNS_24const_host_device_scalarIfEENS9_IdEENS9_IS5_EEb.has_recursion, 0
	.set _ZN9rocsparseL12csrilu0_hashILj256ELj64ELj8E21rocsparse_complex_numIdEEEviPKiS4_PT2_S4_PiS4_S7_S7_d21rocsparse_index_base_imNS_24const_host_device_scalarIfEENS9_IdEENS9_IS5_EEb.has_indirect_call, 0
	.section	.AMDGPU.csdata,"",@progbits
; Kernel info:
; codeLenInByte = 3620
; TotalNumSgprs: 42
; NumVgprs: 38
; ScratchSize: 16
; MemoryBound: 0
; FloatMode: 240
; IeeeMode: 1
; LDSByteSize: 16384 bytes/workgroup (compile time only)
; SGPRBlocks: 0
; VGPRBlocks: 2
; NumSGPRsForWavesPerEU: 42
; NumVGPRsForWavesPerEU: 38
; NamedBarCnt: 0
; Occupancy: 16
; WaveLimiterHint : 1
; COMPUTE_PGM_RSRC2:SCRATCH_EN: 1
; COMPUTE_PGM_RSRC2:USER_SGPR: 2
; COMPUTE_PGM_RSRC2:TRAP_HANDLER: 0
; COMPUTE_PGM_RSRC2:TGID_X_EN: 1
; COMPUTE_PGM_RSRC2:TGID_Y_EN: 0
; COMPUTE_PGM_RSRC2:TGID_Z_EN: 0
; COMPUTE_PGM_RSRC2:TIDIG_COMP_CNT: 0
	.section	.text._ZN9rocsparseL12csrilu0_hashILj256ELj64ELj16E21rocsparse_complex_numIdEEEviPKiS4_PT2_S4_PiS4_S7_S7_d21rocsparse_index_base_imNS_24const_host_device_scalarIfEENS9_IdEENS9_IS5_EEb,"axG",@progbits,_ZN9rocsparseL12csrilu0_hashILj256ELj64ELj16E21rocsparse_complex_numIdEEEviPKiS4_PT2_S4_PiS4_S7_S7_d21rocsparse_index_base_imNS_24const_host_device_scalarIfEENS9_IdEENS9_IS5_EEb,comdat
	.globl	_ZN9rocsparseL12csrilu0_hashILj256ELj64ELj16E21rocsparse_complex_numIdEEEviPKiS4_PT2_S4_PiS4_S7_S7_d21rocsparse_index_base_imNS_24const_host_device_scalarIfEENS9_IdEENS9_IS5_EEb ; -- Begin function _ZN9rocsparseL12csrilu0_hashILj256ELj64ELj16E21rocsparse_complex_numIdEEEviPKiS4_PT2_S4_PiS4_S7_S7_d21rocsparse_index_base_imNS_24const_host_device_scalarIfEENS9_IdEENS9_IS5_EEb
	.p2align	8
	.type	_ZN9rocsparseL12csrilu0_hashILj256ELj64ELj16E21rocsparse_complex_numIdEEEviPKiS4_PT2_S4_PiS4_S7_S7_d21rocsparse_index_base_imNS_24const_host_device_scalarIfEENS9_IdEENS9_IS5_EEb,@function
_ZN9rocsparseL12csrilu0_hashILj256ELj64ELj16E21rocsparse_complex_numIdEEEviPKiS4_PT2_S4_PiS4_S7_S7_d21rocsparse_index_base_imNS_24const_host_device_scalarIfEENS9_IdEENS9_IS5_EEb: ; @_ZN9rocsparseL12csrilu0_hashILj256ELj64ELj16E21rocsparse_complex_numIdEEEviPKiS4_PT2_S4_PiS4_S7_S7_d21rocsparse_index_base_imNS_24const_host_device_scalarIfEENS9_IdEENS9_IS5_EEb
; %bb.0:
	s_clause 0x2
	s_load_b96 s[4:6], s[0:1], 0x78
	s_load_b64 s[28:29], s[0:1], 0x50
	s_load_b256 s[20:27], s[0:1], 0x58
	s_wait_kmcnt 0x0
	s_bitcmp1_b32 s6, 0
	s_cselect_b32 s2, -1, 0
	s_cmp_eq_u32 s29, 0
	v_mov_b64_e32 v[2:3], s[26:27]
	s_cselect_b32 s3, -1, 0
	s_cmp_lg_u32 s29, 0
	s_cselect_b32 s8, -1, 0
	s_or_b32 s10, s3, s2
	s_delay_alu instid0(SALU_CYCLE_1)
	s_xor_b32 s9, s10, -1
	s_and_b32 s3, s3, exec_lo
	s_cselect_b32 s7, 0, s25
	s_cselect_b32 s6, 0, s24
	;; [unrolled: 1-line block ×3, first 2 shown]
	s_and_b32 vcc_lo, exec_lo, s10
	scratch_store_b64 off, v[2:3], off
	s_cbranch_vccnz .LBB50_2
; %bb.1:
	s_load_b32 s3, s[22:23], 0x0
	s_mov_b64 s[6:7], s[24:25]
.LBB50_2:
	s_delay_alu instid0(SALU_CYCLE_1)
	v_mov_b64_e32 v[16:17], s[6:7]
	s_and_not1_b32 vcc_lo, exec_lo, s9
	s_cbranch_vccnz .LBB50_4
; %bb.3:
	v_mov_b32_e32 v1, 0
	flat_load_b64 v[16:17], v1, s[24:25]
.LBB50_4:
	v_mov_b64_e32 v[4:5], 0
	s_wait_xcnt 0x0
	v_mov_b64_e32 v[2:3], 0
	v_cndmask_b32_e64 v19, 0, 1, s8
	s_and_not1_b32 vcc_lo, exec_lo, s8
	s_cbranch_vccnz .LBB50_7
; %bb.5:
	v_mbcnt_lo_u32_b32 v1, -1, 0
	v_mov_b32_e32 v2, 0
	v_mov_b64_e32 v[4:5], s[4:5]
	s_delay_alu instid0(VALU_DEP_3) | instskip(NEXT) | instid1(VALU_DEP_1)
	v_lshlrev_b32_e32 v3, 20, v1
	v_add_nc_u64_e32 v[2:3], src_flat_scratch_base_lo, v[2:3]
	s_delay_alu instid0(VALU_DEP_1) | instskip(NEXT) | instid1(VALU_DEP_2)
	v_cndmask_b32_e64 v3, s27, v3, s2
	v_cndmask_b32_e64 v2, s26, v2, s2
	s_xor_b32 s2, s2, -1
	s_delay_alu instid0(SALU_CYCLE_1)
	s_and_not1_b32 vcc_lo, exec_lo, s2
	flat_load_b64 v[2:3], v[2:3]
	s_cbranch_vccnz .LBB50_7
; %bb.6:
	v_mov_b32_e32 v1, 0
	flat_load_b64 v[4:5], v1, s[26:27] offset:8
.LBB50_7:
	s_wait_xcnt 0x0
	v_dual_lshrrev_b32 v1, 6, v0 :: v_dual_bitop2_b32 v22, 63, v0 bitop3:0x40
	s_mov_b32 s2, 0
	s_delay_alu instid0(VALU_DEP_1) | instskip(SKIP_1) | instid1(VALU_DEP_2)
	v_dual_lshlrev_b32 v7, 12, v1 :: v_dual_lshlrev_b32 v8, 2, v22
	v_or_b32_e32 v6, 0xffffffc0, v22
	v_or3_b32 v7, v7, v8, 0x4000
	v_mov_b32_e32 v8, -1
.LBB50_8:                               ; =>This Inner Loop Header: Depth=1
	s_delay_alu instid0(VALU_DEP_3) | instskip(SKIP_4) | instid1(SALU_CYCLE_1)
	v_add_nc_u32_e32 v6, 64, v6
	ds_store_b32 v7, v8
	v_add_nc_u32_e32 v7, 0x100, v7
	v_cmp_lt_u32_e32 vcc_lo, 0x3bf, v6
	s_or_b32 s2, vcc_lo, s2
	s_and_not1_b32 exec_lo, exec_lo, s2
	s_cbranch_execnz .LBB50_8
; %bb.9:
	s_or_b32 exec_lo, exec_lo, s2
	s_load_b32 s2, s[0:1], 0x0
	s_bfe_u32 s4, ttmp6, 0x4000c
	s_and_b32 s5, ttmp6, 15
	s_add_co_i32 s4, s4, 1
	s_getreg_b32 s6, hwreg(HW_REG_IB_STS2, 6, 4)
	s_mul_i32 s4, ttmp9, s4
	s_wait_storecnt 0x0
	s_wait_loadcnt_dscnt 0x0
	s_add_co_i32 s5, s5, s4
	s_cmp_eq_u32 s6, 0
	s_cselect_b32 s4, ttmp9, s5
	s_delay_alu instid0(SALU_CYCLE_1) | instskip(NEXT) | instid1(SALU_CYCLE_1)
	s_lshl_b32 s4, s4, 2
	v_and_or_b32 v1, 0x3fffffc, s4, v1
	s_wait_kmcnt 0x0
	s_delay_alu instid0(VALU_DEP_1)
	v_cmp_gt_i32_e32 vcc_lo, s2, v1
	s_and_saveexec_b32 s2, vcc_lo
	s_cbranch_execz .LBB50_87
; %bb.10:
	s_load_b512 s[4:19], s[0:1], 0x8
	s_mov_b32 s2, exec_lo
	s_wait_kmcnt 0x0
	global_load_b32 v14, v1, s[14:15] scale_offset
	s_wait_xcnt 0x0
	v_lshlrev_b32_e32 v1, 6, v0
	s_delay_alu instid0(VALU_DEP_1) | instskip(NEXT) | instid1(VALU_DEP_1)
	v_and_b32_e32 v23, 0x3000, v1
	v_or_b32_e32 v24, 0x4000, v23
	s_wait_loadcnt 0x0
	v_ashrrev_i32_e32 v15, 31, v14
	s_delay_alu instid0(VALU_DEP_1)
	v_lshl_add_u64 v[6:7], v[14:15], 2, s[4:5]
	global_load_b64 v[8:9], v[6:7], off
	global_load_b32 v18, v14, s[10:11] scale_offset
	s_wait_loadcnt 0x1
	v_subrev_nc_u32_e32 v0, s28, v8
	v_subrev_nc_u32_e32 v1, s28, v9
	s_delay_alu instid0(VALU_DEP_2) | instskip(SKIP_1) | instid1(VALU_DEP_1)
	v_add_nc_u32_e32 v6, v0, v22
	s_wait_xcnt 0x0
	v_cmpx_lt_i32_e64 v6, v1
	s_cbranch_execz .LBB50_33
; %bb.11:
	v_mov_b32_e32 v7, -1
	s_mov_b32 s14, 0
	s_branch .LBB50_13
.LBB50_12:                              ;   in Loop: Header=BB50_13 Depth=1
	s_or_b32 exec_lo, exec_lo, s15
	v_add_nc_u32_e32 v6, 64, v6
	s_delay_alu instid0(VALU_DEP_1) | instskip(SKIP_1) | instid1(SALU_CYCLE_1)
	v_cmp_ge_i32_e32 vcc_lo, v6, v1
	s_or_b32 s14, vcc_lo, s14
	s_and_not1_b32 exec_lo, exec_lo, s14
	s_cbranch_execz .LBB50_33
.LBB50_13:                              ; =>This Loop Header: Depth=1
                                        ;     Child Loop BB50_22 Depth 2
	global_load_b32 v8, v6, s[6:7] scale_offset
	v_mov_b32_e32 v9, 0x400
	s_mov_b32 s15, 0
                                        ; implicit-def: $sgpr22
                                        ; implicit-def: $sgpr23
                                        ; implicit-def: $sgpr24
	s_wait_loadcnt 0x0
	v_mul_lo_u32 v11, 0x67, v8
	s_branch .LBB50_22
.LBB50_14:                              ;   in Loop: Header=BB50_22 Depth=2
	s_or_b32 exec_lo, exec_lo, s36
	s_delay_alu instid0(SALU_CYCLE_1)
	s_or_not1_b32 s34, s34, exec_lo
	s_or_not1_b32 s35, s35, exec_lo
.LBB50_15:                              ;   in Loop: Header=BB50_22 Depth=2
	s_or_b32 exec_lo, exec_lo, s33
	s_delay_alu instid0(SALU_CYCLE_1)
	s_and_b32 s34, s34, exec_lo
	s_or_not1_b32 s33, s35, exec_lo
.LBB50_16:                              ;   in Loop: Header=BB50_22 Depth=2
	s_or_b32 exec_lo, exec_lo, s31
	s_delay_alu instid0(SALU_CYCLE_1)
	s_or_not1_b32 s31, s34, exec_lo
	s_or_not1_b32 s33, s33, exec_lo
.LBB50_17:                              ;   in Loop: Header=BB50_22 Depth=2
	s_or_b32 exec_lo, exec_lo, s30
	s_delay_alu instid0(SALU_CYCLE_1)
	s_and_b32 s31, s31, exec_lo
	s_or_not1_b32 s30, s33, exec_lo
.LBB50_18:                              ;   in Loop: Header=BB50_22 Depth=2
	s_or_b32 exec_lo, exec_lo, s29
	s_delay_alu instid0(SALU_CYCLE_1)
	s_or_not1_b32 s29, s31, exec_lo
	s_or_not1_b32 s30, s30, exec_lo
.LBB50_19:                              ;   in Loop: Header=BB50_22 Depth=2
	s_or_b32 exec_lo, exec_lo, s27
	s_delay_alu instid0(SALU_CYCLE_1)
	s_and_b32 s29, s29, exec_lo
	s_or_not1_b32 s27, s30, exec_lo
.LBB50_20:                              ;   in Loop: Header=BB50_22 Depth=2
	s_or_b32 exec_lo, exec_lo, s26
	s_delay_alu instid0(SALU_CYCLE_1)
	s_and_not1_b32 s24, s24, exec_lo
	s_and_b32 s26, s29, exec_lo
	s_and_not1_b32 s23, s23, exec_lo
	s_and_b32 s27, s27, exec_lo
	s_or_b32 s24, s24, s26
	s_or_b32 s23, s23, s27
.LBB50_21:                              ;   in Loop: Header=BB50_22 Depth=2
	s_or_b32 exec_lo, exec_lo, s25
	s_delay_alu instid0(SALU_CYCLE_1) | instskip(NEXT) | instid1(SALU_CYCLE_1)
	s_and_b32 s25, exec_lo, s23
	s_or_b32 s15, s25, s15
	s_and_not1_b32 s22, s22, exec_lo
	s_and_b32 s25, s24, exec_lo
	s_delay_alu instid0(SALU_CYCLE_1)
	s_or_b32 s22, s22, s25
	s_and_not1_b32 exec_lo, exec_lo, s15
	s_cbranch_execz .LBB50_31
.LBB50_22:                              ;   Parent Loop BB50_13 Depth=1
                                        ; =>  This Inner Loop Header: Depth=2
	s_delay_alu instid0(VALU_DEP_1) | instskip(SKIP_3) | instid1(VALU_DEP_1)
	v_and_b32_e32 v10, 0x3ff, v11
	s_or_b32 s24, s24, exec_lo
	s_or_b32 s23, s23, exec_lo
	s_mov_b32 s25, exec_lo
	v_lshl_add_u32 v12, v10, 2, v24
	ds_load_b32 v13, v12
	s_wait_dscnt 0x0
	s_wait_xcnt 0x0
	v_cmpx_ne_u32_e64 v13, v8
	s_cbranch_execz .LBB50_21
; %bb.23:                               ;   in Loop: Header=BB50_22 Depth=2
	ds_cmpstore_rtn_b32 v12, v12, v8, v7
	s_mov_b32 s27, -1
	s_mov_b32 s29, 0
	s_mov_b32 s26, exec_lo
	s_wait_dscnt 0x0
	v_cmpx_ne_u32_e32 -1, v12
	s_cbranch_execz .LBB50_20
; %bb.24:                               ;   in Loop: Header=BB50_22 Depth=2
	v_add_nc_u32_e32 v10, 1, v11
	s_mov_b32 s30, -1
	s_mov_b32 s29, -1
	s_mov_b32 s27, exec_lo
	s_delay_alu instid0(VALU_DEP_1) | instskip(NEXT) | instid1(VALU_DEP_1)
	v_and_b32_e32 v10, 0x3ff, v10
	v_lshl_add_u32 v12, v10, 2, v24
	ds_load_b32 v13, v12
	s_wait_dscnt 0x0
	v_cmpx_ne_u32_e64 v13, v8
	s_cbranch_execz .LBB50_19
; %bb.25:                               ;   in Loop: Header=BB50_22 Depth=2
	ds_cmpstore_rtn_b32 v12, v12, v8, v7
	s_mov_b32 s31, 0
	s_mov_b32 s29, exec_lo
	s_wait_dscnt 0x0
	v_cmpx_ne_u32_e32 -1, v12
	s_cbranch_execz .LBB50_18
; %bb.26:                               ;   in Loop: Header=BB50_22 Depth=2
	v_add_nc_u32_e32 v10, 2, v11
	s_mov_b32 s33, -1
	s_mov_b32 s31, -1
	s_mov_b32 s30, exec_lo
	s_delay_alu instid0(VALU_DEP_1) | instskip(NEXT) | instid1(VALU_DEP_1)
	v_and_b32_e32 v10, 0x3ff, v10
	v_lshl_add_u32 v12, v10, 2, v24
	ds_load_b32 v13, v12
	s_wait_dscnt 0x0
	v_cmpx_ne_u32_e64 v13, v8
	s_cbranch_execz .LBB50_17
; %bb.27:                               ;   in Loop: Header=BB50_22 Depth=2
	ds_cmpstore_rtn_b32 v12, v12, v8, v7
	s_mov_b32 s34, 0
	s_mov_b32 s31, exec_lo
	s_wait_dscnt 0x0
	v_cmpx_ne_u32_e32 -1, v12
	s_cbranch_execz .LBB50_16
; %bb.28:                               ;   in Loop: Header=BB50_22 Depth=2
	v_add_nc_u32_e32 v10, 3, v11
	s_mov_b32 s35, -1
	s_mov_b32 s34, -1
	s_delay_alu instid0(VALU_DEP_1) | instskip(NEXT) | instid1(VALU_DEP_1)
	v_and_b32_e32 v10, 0x3ff, v10
	v_lshl_add_u32 v12, v10, 2, v24
	ds_load_b32 v11, v12
	s_wait_dscnt 0x0
	v_cmp_ne_u32_e32 vcc_lo, v11, v8
                                        ; implicit-def: $vgpr11
	s_and_saveexec_b32 s33, vcc_lo
	s_cbranch_execz .LBB50_15
; %bb.29:                               ;   in Loop: Header=BB50_22 Depth=2
	ds_cmpstore_rtn_b32 v11, v12, v8, v7
	s_mov_b32 s34, 0
	s_wait_dscnt 0x0
	v_cmp_ne_u32_e32 vcc_lo, -1, v11
                                        ; implicit-def: $vgpr11
	s_and_saveexec_b32 s36, vcc_lo
	s_cbranch_execz .LBB50_14
; %bb.30:                               ;   in Loop: Header=BB50_22 Depth=2
	v_dual_add_nc_u32 v9, -4, v9 :: v_dual_add_nc_u32 v11, 1, v10
	s_mov_b32 s34, exec_lo
	s_delay_alu instid0(VALU_DEP_1)
	v_cmp_eq_u32_e32 vcc_lo, 0, v9
	s_or_not1_b32 s35, vcc_lo, exec_lo
	s_branch .LBB50_14
.LBB50_31:                              ;   in Loop: Header=BB50_13 Depth=1
	s_or_b32 exec_lo, exec_lo, s15
	s_xor_b32 s15, s22, -1
	s_delay_alu instid0(SALU_CYCLE_1) | instskip(NEXT) | instid1(SALU_CYCLE_1)
	s_and_saveexec_b32 s22, s15
	s_xor_b32 s15, exec_lo, s22
	s_cbranch_execz .LBB50_12
; %bb.32:                               ;   in Loop: Header=BB50_13 Depth=1
	v_lshl_add_u32 v8, v10, 2, v23
	ds_store_b32 v8, v6
	s_branch .LBB50_12
.LBB50_33:
	s_or_b32 exec_lo, exec_lo, s2
	s_delay_alu instid0(SALU_CYCLE_1)
	s_mov_b32 s14, exec_lo
	s_wait_loadcnt_dscnt 0x0
	v_cmpx_lt_i32_e64 v0, v18
	s_cbranch_execz .LBB50_63
; %bb.34:
	v_add_nc_u32_e32 v25, 1, v22
	s_mov_b32 s15, 0
	s_branch .LBB50_37
.LBB50_35:                              ;   in Loop: Header=BB50_37 Depth=1
	s_or_b32 exec_lo, exec_lo, s22
	v_add_nc_u32_e32 v0, 1, v0
	s_delay_alu instid0(VALU_DEP_1)
	v_cmp_ge_i32_e32 vcc_lo, v0, v18
	s_or_not1_b32 s22, vcc_lo, exec_lo
.LBB50_36:                              ;   in Loop: Header=BB50_37 Depth=1
	s_or_b32 exec_lo, exec_lo, s2
	s_delay_alu instid0(SALU_CYCLE_1) | instskip(NEXT) | instid1(SALU_CYCLE_1)
	s_and_b32 s2, exec_lo, s22
	s_or_b32 s15, s2, s15
	s_delay_alu instid0(SALU_CYCLE_1)
	s_and_not1_b32 exec_lo, exec_lo, s15
	s_cbranch_execz .LBB50_63
.LBB50_37:                              ; =>This Loop Header: Depth=1
                                        ;     Child Loop BB50_38 Depth 2
                                        ;     Child Loop BB50_43 Depth 2
                                        ;       Child Loop BB50_52 Depth 3
	s_clause 0x1
	global_load_b32 v1, v0, s[6:7] scale_offset
	global_load_b128 v[6:9], v0, s[8:9] scale_offset
	s_mov_b32 s2, 0
	s_wait_loadcnt 0x1
	v_subrev_nc_u32_e32 v10, s28, v1
	v_ashrrev_i32_e32 v1, 31, v0
	s_clause 0x1
	global_load_b32 v13, v10, s[4:5] offset:4 scale_offset
	global_load_b32 v12, v10, s[10:11] scale_offset
	v_ashrrev_i32_e32 v11, 31, v10
	v_lshl_add_u64 v[20:21], v[0:1], 4, s[8:9]
	s_wait_xcnt 0x0
	s_delay_alu instid0(VALU_DEP_2)
	v_lshl_add_u64 v[10:11], v[10:11], 2, s[12:13]
.LBB50_38:                              ;   Parent Loop BB50_37 Depth=1
                                        ; =>  This Inner Loop Header: Depth=2
	global_load_b32 v1, v[10:11], off scope:SCOPE_DEV
	s_wait_loadcnt 0x0
	v_cmp_ne_u32_e32 vcc_lo, 0, v1
	s_or_b32 s2, vcc_lo, s2
	s_wait_xcnt 0x0
	s_and_not1_b32 exec_lo, exec_lo, s2
	s_cbranch_execnz .LBB50_38
; %bb.39:                               ;   in Loop: Header=BB50_37 Depth=1
	s_or_b32 exec_lo, exec_lo, s2
	v_subrev_nc_u32_e32 v1, s28, v13
	v_cmp_eq_u32_e32 vcc_lo, -1, v12
	global_inv scope:SCOPE_DEV
	s_mov_b32 s22, -1
	v_add_nc_u32_e32 v10, -1, v1
	s_delay_alu instid0(VALU_DEP_1)
	v_cndmask_b32_e32 v26, v12, v10, vcc_lo
	global_load_b128 v[10:13], v26, s[8:9] scale_offset
	s_wait_loadcnt 0x0
	v_cmp_neq_f64_e32 vcc_lo, 0, v[10:11]
	v_cmp_neq_f64_e64 s2, 0, v[12:13]
	s_or_b32 s23, vcc_lo, s2
	s_wait_xcnt 0x0
	s_and_saveexec_b32 s2, s23
	s_cbranch_execz .LBB50_36
; %bb.40:                               ;   in Loop: Header=BB50_37 Depth=1
	v_mul_f64_e32 v[28:29], v[12:13], v[12:13]
	s_mov_b32 s22, exec_lo
	s_delay_alu instid0(VALU_DEP_1) | instskip(NEXT) | instid1(VALU_DEP_1)
	v_fmac_f64_e32 v[28:29], v[10:11], v[10:11]
	v_div_scale_f64 v[30:31], null, v[28:29], v[28:29], 1.0
	v_div_scale_f64 v[36:37], vcc_lo, 1.0, v[28:29], 1.0
	s_delay_alu instid0(VALU_DEP_2) | instskip(SKIP_1) | instid1(TRANS32_DEP_1)
	v_rcp_f64_e32 v[32:33], v[30:31]
	v_nop
	v_fma_f64 v[34:35], -v[30:31], v[32:33], 1.0
	s_delay_alu instid0(VALU_DEP_1) | instskip(NEXT) | instid1(VALU_DEP_1)
	v_fmac_f64_e32 v[32:33], v[32:33], v[34:35]
	v_fma_f64 v[34:35], -v[30:31], v[32:33], 1.0
	s_delay_alu instid0(VALU_DEP_1) | instskip(NEXT) | instid1(VALU_DEP_1)
	v_fmac_f64_e32 v[32:33], v[32:33], v[34:35]
	v_mul_f64_e32 v[34:35], v[36:37], v[32:33]
	s_delay_alu instid0(VALU_DEP_1) | instskip(SKIP_2) | instid1(VALU_DEP_3)
	v_fma_f64 v[30:31], -v[30:31], v[34:35], v[36:37]
	v_mul_f64_e32 v[36:37], v[8:9], v[12:13]
	v_mul_f64_e64 v[12:13], v[12:13], -v[6:7]
	v_div_fmas_f64 v[30:31], v[30:31], v[32:33], v[34:35]
	s_delay_alu instid0(VALU_DEP_3) | instskip(NEXT) | instid1(VALU_DEP_3)
	v_fmac_f64_e32 v[36:37], v[6:7], v[10:11]
	v_fmac_f64_e32 v[12:13], v[8:9], v[10:11]
	v_add_nc_u32_e32 v10, v25, v26
	s_delay_alu instid0(VALU_DEP_4) | instskip(NEXT) | instid1(VALU_DEP_1)
	v_div_fixup_f64 v[28:29], v[30:31], v[28:29], 1.0
	v_mul_f64_e32 v[6:7], v[36:37], v[28:29]
	s_delay_alu instid0(VALU_DEP_4)
	v_mul_f64_e32 v[8:9], v[12:13], v[28:29]
	global_store_b128 v[20:21], v[6:9], off
	s_wait_xcnt 0x0
	v_cmpx_lt_i32_e64 v10, v1
	s_cbranch_execz .LBB50_35
; %bb.41:                               ;   in Loop: Header=BB50_37 Depth=1
	s_mov_b32 s23, 0
	s_branch .LBB50_43
.LBB50_42:                              ;   in Loop: Header=BB50_43 Depth=2
	s_wait_xcnt 0x0
	s_or_b32 exec_lo, exec_lo, s24
	v_add_nc_u32_e32 v10, 64, v10
	s_delay_alu instid0(VALU_DEP_1) | instskip(SKIP_1) | instid1(SALU_CYCLE_1)
	v_cmp_ge_i32_e32 vcc_lo, v10, v1
	s_or_b32 s23, vcc_lo, s23
	s_and_not1_b32 exec_lo, exec_lo, s23
	s_cbranch_execz .LBB50_35
.LBB50_43:                              ;   Parent Loop BB50_37 Depth=1
                                        ; =>  This Loop Header: Depth=2
                                        ;       Child Loop BB50_52 Depth 3
	global_load_b32 v12, v10, s[6:7] scale_offset
	v_ashrrev_i32_e32 v11, 31, v10
	v_mov_b32_e32 v13, 0x400
	s_mov_b32 s24, 0
                                        ; implicit-def: $sgpr25
                                        ; implicit-def: $sgpr26
                                        ; implicit-def: $sgpr27
	s_wait_loadcnt 0x0
	v_mul_lo_u32 v21, 0x67, v12
	s_branch .LBB50_52
.LBB50_44:                              ;   in Loop: Header=BB50_52 Depth=3
	s_or_b32 exec_lo, exec_lo, s39
	s_delay_alu instid0(SALU_CYCLE_1)
	s_or_not1_b32 s37, s37, exec_lo
	s_or_not1_b32 s38, s38, exec_lo
.LBB50_45:                              ;   in Loop: Header=BB50_52 Depth=3
	s_or_b32 exec_lo, exec_lo, s36
	s_delay_alu instid0(SALU_CYCLE_1)
	s_and_b32 s37, s37, exec_lo
	s_or_not1_b32 s36, s38, exec_lo
.LBB50_46:                              ;   in Loop: Header=BB50_52 Depth=3
	s_or_b32 exec_lo, exec_lo, s35
	s_delay_alu instid0(SALU_CYCLE_1)
	s_or_not1_b32 s35, s37, exec_lo
	s_or_not1_b32 s36, s36, exec_lo
.LBB50_47:                              ;   in Loop: Header=BB50_52 Depth=3
	s_or_b32 exec_lo, exec_lo, s34
	s_delay_alu instid0(SALU_CYCLE_1)
	s_and_b32 s35, s35, exec_lo
	s_or_not1_b32 s34, s36, exec_lo
.LBB50_48:                              ;   in Loop: Header=BB50_52 Depth=3
	s_or_b32 exec_lo, exec_lo, s33
	s_delay_alu instid0(SALU_CYCLE_1)
	s_or_not1_b32 s33, s35, exec_lo
	s_or_not1_b32 s34, s34, exec_lo
.LBB50_49:                              ;   in Loop: Header=BB50_52 Depth=3
	s_or_b32 exec_lo, exec_lo, s31
	s_delay_alu instid0(SALU_CYCLE_1)
	s_and_b32 s33, s33, exec_lo
	s_or_not1_b32 s31, s34, exec_lo
.LBB50_50:                              ;   in Loop: Header=BB50_52 Depth=3
	s_or_b32 exec_lo, exec_lo, s30
	s_delay_alu instid0(SALU_CYCLE_1)
	s_and_not1_b32 s27, s27, exec_lo
	s_and_b32 s30, s33, exec_lo
	s_and_not1_b32 s26, s26, exec_lo
	s_and_b32 s31, s31, exec_lo
	s_or_b32 s27, s27, s30
	s_or_b32 s26, s26, s31
.LBB50_51:                              ;   in Loop: Header=BB50_52 Depth=3
	s_or_b32 exec_lo, exec_lo, s29
	s_delay_alu instid0(SALU_CYCLE_1) | instskip(NEXT) | instid1(SALU_CYCLE_1)
	s_and_b32 s29, exec_lo, s26
	s_or_b32 s24, s29, s24
	s_and_not1_b32 s25, s25, exec_lo
	s_and_b32 s29, s27, exec_lo
	s_delay_alu instid0(SALU_CYCLE_1)
	s_or_b32 s25, s25, s29
	s_and_not1_b32 exec_lo, exec_lo, s24
	s_cbranch_execz .LBB50_61
.LBB50_52:                              ;   Parent Loop BB50_37 Depth=1
                                        ;     Parent Loop BB50_43 Depth=2
                                        ; =>    This Inner Loop Header: Depth=3
	s_delay_alu instid0(VALU_DEP_1) | instskip(SKIP_3) | instid1(VALU_DEP_1)
	v_and_b32_e32 v20, 0x3ff, v21
	s_or_b32 s27, s27, exec_lo
	s_or_b32 s26, s26, exec_lo
	s_mov_b32 s29, exec_lo
	v_lshl_add_u32 v26, v20, 2, v24
	ds_load_b32 v26, v26
	s_wait_dscnt 0x0
	s_wait_xcnt 0x0
	v_cmpx_ne_u32_e32 -1, v26
	s_cbranch_execz .LBB50_51
; %bb.53:                               ;   in Loop: Header=BB50_52 Depth=3
	s_mov_b32 s31, -1
	s_mov_b32 s33, 0
	s_mov_b32 s30, exec_lo
	v_cmpx_ne_u32_e64 v26, v12
	s_cbranch_execz .LBB50_50
; %bb.54:                               ;   in Loop: Header=BB50_52 Depth=3
	v_add_nc_u32_e32 v20, 1, v21
	s_mov_b32 s34, -1
	s_mov_b32 s33, -1
	s_mov_b32 s31, exec_lo
	s_delay_alu instid0(VALU_DEP_1) | instskip(NEXT) | instid1(VALU_DEP_1)
	v_and_b32_e32 v20, 0x3ff, v20
	v_lshl_add_u32 v26, v20, 2, v24
	ds_load_b32 v26, v26
	s_wait_dscnt 0x0
	v_cmpx_ne_u32_e32 -1, v26
	s_cbranch_execz .LBB50_49
; %bb.55:                               ;   in Loop: Header=BB50_52 Depth=3
	s_mov_b32 s35, 0
	s_mov_b32 s33, exec_lo
	v_cmpx_ne_u32_e64 v26, v12
	s_cbranch_execz .LBB50_48
; %bb.56:                               ;   in Loop: Header=BB50_52 Depth=3
	v_add_nc_u32_e32 v20, 2, v21
	s_mov_b32 s36, -1
	s_mov_b32 s35, -1
	s_mov_b32 s34, exec_lo
	s_delay_alu instid0(VALU_DEP_1) | instskip(NEXT) | instid1(VALU_DEP_1)
	v_and_b32_e32 v20, 0x3ff, v20
	v_lshl_add_u32 v26, v20, 2, v24
	ds_load_b32 v26, v26
	s_wait_dscnt 0x0
	v_cmpx_ne_u32_e32 -1, v26
	s_cbranch_execz .LBB50_47
; %bb.57:                               ;   in Loop: Header=BB50_52 Depth=3
	s_mov_b32 s37, 0
	s_mov_b32 s35, exec_lo
	v_cmpx_ne_u32_e64 v26, v12
	s_cbranch_execz .LBB50_46
; %bb.58:                               ;   in Loop: Header=BB50_52 Depth=3
	v_add_nc_u32_e32 v20, 3, v21
	s_mov_b32 s38, -1
	s_mov_b32 s37, -1
	s_mov_b32 s36, exec_lo
	s_delay_alu instid0(VALU_DEP_1) | instskip(NEXT) | instid1(VALU_DEP_1)
	v_and_b32_e32 v20, 0x3ff, v20
	v_lshl_add_u32 v21, v20, 2, v24
	ds_load_b32 v26, v21
                                        ; implicit-def: $vgpr21
	s_wait_dscnt 0x0
	v_cmpx_ne_u32_e32 -1, v26
	s_cbranch_execz .LBB50_45
; %bb.59:                               ;   in Loop: Header=BB50_52 Depth=3
	s_mov_b32 s37, 0
	s_mov_b32 s39, exec_lo
                                        ; implicit-def: $vgpr21
	v_cmpx_ne_u32_e64 v26, v12
	s_cbranch_execz .LBB50_44
; %bb.60:                               ;   in Loop: Header=BB50_52 Depth=3
	v_dual_add_nc_u32 v13, -4, v13 :: v_dual_add_nc_u32 v21, 1, v20
	s_mov_b32 s37, exec_lo
	s_delay_alu instid0(VALU_DEP_1)
	v_cmp_eq_u32_e32 vcc_lo, 0, v13
	s_or_not1_b32 s38, vcc_lo, exec_lo
	s_branch .LBB50_44
.LBB50_61:                              ;   in Loop: Header=BB50_43 Depth=2
	s_or_b32 exec_lo, exec_lo, s24
	s_xor_b32 s24, s25, -1
	s_delay_alu instid0(SALU_CYCLE_1) | instskip(NEXT) | instid1(SALU_CYCLE_1)
	s_and_saveexec_b32 s25, s24
	s_xor_b32 s24, exec_lo, s25
	s_cbranch_execz .LBB50_42
; %bb.62:                               ;   in Loop: Header=BB50_43 Depth=2
	v_lshl_add_u32 v12, v20, 2, v23
	ds_load_b32 v20, v12
	v_lshl_add_u64 v[12:13], v[10:11], 4, s[8:9]
	global_load_b128 v[26:29], v[12:13], off
	s_wait_dscnt 0x0
	global_load_b128 v[30:33], v20, s[8:9] scale_offset
	s_wait_loadcnt 0x0
	v_fma_f64 v[30:31], -v[6:7], v[26:27], v[30:31]
	s_wait_xcnt 0x1
	v_fma_f64 v[12:13], -v[8:9], v[26:27], v[32:33]
	s_delay_alu instid0(VALU_DEP_2) | instskip(NEXT) | instid1(VALU_DEP_2)
	v_fmac_f64_e32 v[30:31], v[8:9], v[28:29]
	v_fma_f64 v[32:33], -v[6:7], v[28:29], v[12:13]
	global_store_b128 v20, v[30:33], s[8:9] scale_offset
	s_branch .LBB50_42
.LBB50_63:
	s_or_b32 exec_lo, exec_lo, s14
	s_delay_alu instid0(SALU_CYCLE_1)
	s_mov_b32 s4, exec_lo
	s_wait_storecnt 0x0
	v_cmpx_lt_i32_e32 -1, v18
	s_cbranch_execz .LBB50_85
; %bb.64:
	global_load_b128 v[6:9], v18, s[8:9] scale_offset
	s_mov_b32 s2, exec_lo
                                        ; implicit-def: $vgpr12_vgpr13
	s_wait_loadcnt 0x0
	v_cmp_gt_f64_e32 vcc_lo, 0, v[6:7]
	v_xor_b32_e32 v1, 0x80000000, v7
	v_mov_b32_e32 v0, v6
	v_xor_b32_e32 v10, 0x80000000, v9
	s_delay_alu instid0(VALU_DEP_3) | instskip(SKIP_1) | instid1(VALU_DEP_3)
	v_cndmask_b32_e32 v1, v7, v1, vcc_lo
	v_cmp_gt_f64_e32 vcc_lo, 0, v[8:9]
	v_dual_cndmask_b32 v11, v9, v10 :: v_dual_mov_b32 v10, v8
	s_delay_alu instid0(VALU_DEP_1)
	v_cmpx_ngt_f64_e32 v[0:1], v[10:11]
	s_xor_b32 s2, exec_lo, s2
	s_cbranch_execz .LBB50_68
; %bb.65:
	v_mov_b64_e32 v[12:13], 0
	s_mov_b32 s5, exec_lo
	v_cmpx_neq_f64_e32 0, v[8:9]
	s_cbranch_execz .LBB50_67
; %bb.66:
	v_div_scale_f64 v[12:13], null, v[10:11], v[10:11], v[0:1]
	v_div_scale_f64 v[26:27], vcc_lo, v[0:1], v[10:11], v[0:1]
	s_delay_alu instid0(VALU_DEP_2) | instskip(SKIP_1) | instid1(TRANS32_DEP_1)
	v_rcp_f64_e32 v[20:21], v[12:13]
	v_nop
	v_fma_f64 v[24:25], -v[12:13], v[20:21], 1.0
	s_delay_alu instid0(VALU_DEP_1) | instskip(NEXT) | instid1(VALU_DEP_1)
	v_fmac_f64_e32 v[20:21], v[20:21], v[24:25]
	v_fma_f64 v[24:25], -v[12:13], v[20:21], 1.0
	s_delay_alu instid0(VALU_DEP_1) | instskip(NEXT) | instid1(VALU_DEP_1)
	v_fmac_f64_e32 v[20:21], v[20:21], v[24:25]
	v_mul_f64_e32 v[24:25], v[26:27], v[20:21]
	s_delay_alu instid0(VALU_DEP_1) | instskip(NEXT) | instid1(VALU_DEP_1)
	v_fma_f64 v[12:13], -v[12:13], v[24:25], v[26:27]
	v_div_fmas_f64 v[12:13], v[12:13], v[20:21], v[24:25]
	s_delay_alu instid0(VALU_DEP_1) | instskip(NEXT) | instid1(VALU_DEP_1)
	v_div_fixup_f64 v[0:1], v[12:13], v[10:11], v[0:1]
	v_fma_f64 v[0:1], v[0:1], v[0:1], 1.0
	s_delay_alu instid0(VALU_DEP_1) | instskip(SKIP_1) | instid1(VALU_DEP_1)
	v_cmp_gt_f64_e32 vcc_lo, 0x10000000, v[0:1]
	v_cndmask_b32_e64 v12, 0, 0x100, vcc_lo
	v_ldexp_f64 v[0:1], v[0:1], v12
	s_delay_alu instid0(VALU_DEP_1) | instskip(SKIP_1) | instid1(TRANS32_DEP_1)
	v_rsq_f64_e32 v[12:13], v[0:1]
	v_nop
	v_mul_f64_e32 v[20:21], v[0:1], v[12:13]
	v_mul_f64_e32 v[12:13], 0.5, v[12:13]
	s_delay_alu instid0(VALU_DEP_1) | instskip(NEXT) | instid1(VALU_DEP_1)
	v_fma_f64 v[24:25], -v[12:13], v[20:21], 0.5
	v_fmac_f64_e32 v[20:21], v[20:21], v[24:25]
	v_fmac_f64_e32 v[12:13], v[12:13], v[24:25]
	s_delay_alu instid0(VALU_DEP_2) | instskip(NEXT) | instid1(VALU_DEP_1)
	v_fma_f64 v[24:25], -v[20:21], v[20:21], v[0:1]
	v_fmac_f64_e32 v[20:21], v[24:25], v[12:13]
	s_delay_alu instid0(VALU_DEP_1) | instskip(NEXT) | instid1(VALU_DEP_1)
	v_fma_f64 v[24:25], -v[20:21], v[20:21], v[0:1]
	v_fmac_f64_e32 v[20:21], v[24:25], v[12:13]
	v_cndmask_b32_e64 v12, 0, 0xffffff80, vcc_lo
	v_cmp_class_f64_e64 vcc_lo, v[0:1], 0x260
	s_delay_alu instid0(VALU_DEP_2) | instskip(NEXT) | instid1(VALU_DEP_1)
	v_ldexp_f64 v[12:13], v[20:21], v12
	v_dual_cndmask_b32 v1, v13, v1 :: v_dual_cndmask_b32 v0, v12, v0
	s_delay_alu instid0(VALU_DEP_1)
	v_mul_f64_e32 v[12:13], v[10:11], v[0:1]
.LBB50_67:
	s_or_b32 exec_lo, exec_lo, s5
                                        ; implicit-def: $vgpr0_vgpr1
                                        ; implicit-def: $vgpr10_vgpr11
.LBB50_68:
	s_and_not1_saveexec_b32 s2, s2
	s_cbranch_execz .LBB50_70
; %bb.69:
	v_div_scale_f64 v[12:13], null, v[0:1], v[0:1], v[10:11]
	v_div_scale_f64 v[26:27], vcc_lo, v[10:11], v[0:1], v[10:11]
	s_delay_alu instid0(VALU_DEP_2) | instskip(SKIP_1) | instid1(TRANS32_DEP_1)
	v_rcp_f64_e32 v[20:21], v[12:13]
	v_nop
	v_fma_f64 v[24:25], -v[12:13], v[20:21], 1.0
	s_delay_alu instid0(VALU_DEP_1) | instskip(NEXT) | instid1(VALU_DEP_1)
	v_fmac_f64_e32 v[20:21], v[20:21], v[24:25]
	v_fma_f64 v[24:25], -v[12:13], v[20:21], 1.0
	s_delay_alu instid0(VALU_DEP_1) | instskip(NEXT) | instid1(VALU_DEP_1)
	v_fmac_f64_e32 v[20:21], v[20:21], v[24:25]
	v_mul_f64_e32 v[24:25], v[26:27], v[20:21]
	s_delay_alu instid0(VALU_DEP_1) | instskip(NEXT) | instid1(VALU_DEP_1)
	v_fma_f64 v[12:13], -v[12:13], v[24:25], v[26:27]
	v_div_fmas_f64 v[12:13], v[12:13], v[20:21], v[24:25]
	s_delay_alu instid0(VALU_DEP_1) | instskip(NEXT) | instid1(VALU_DEP_1)
	v_div_fixup_f64 v[10:11], v[12:13], v[0:1], v[10:11]
	v_fma_f64 v[10:11], v[10:11], v[10:11], 1.0
	s_delay_alu instid0(VALU_DEP_1) | instskip(SKIP_1) | instid1(VALU_DEP_1)
	v_cmp_gt_f64_e32 vcc_lo, 0x10000000, v[10:11]
	v_cndmask_b32_e64 v12, 0, 0x100, vcc_lo
	v_ldexp_f64 v[10:11], v[10:11], v12
	s_delay_alu instid0(VALU_DEP_1) | instskip(SKIP_1) | instid1(TRANS32_DEP_1)
	v_rsq_f64_e32 v[12:13], v[10:11]
	v_nop
	v_mul_f64_e32 v[20:21], v[10:11], v[12:13]
	v_mul_f64_e32 v[12:13], 0.5, v[12:13]
	s_delay_alu instid0(VALU_DEP_1) | instskip(NEXT) | instid1(VALU_DEP_1)
	v_fma_f64 v[24:25], -v[12:13], v[20:21], 0.5
	v_fmac_f64_e32 v[20:21], v[20:21], v[24:25]
	v_fmac_f64_e32 v[12:13], v[12:13], v[24:25]
	s_delay_alu instid0(VALU_DEP_2) | instskip(NEXT) | instid1(VALU_DEP_1)
	v_fma_f64 v[24:25], -v[20:21], v[20:21], v[10:11]
	v_fmac_f64_e32 v[20:21], v[24:25], v[12:13]
	s_delay_alu instid0(VALU_DEP_1) | instskip(NEXT) | instid1(VALU_DEP_1)
	v_fma_f64 v[24:25], -v[20:21], v[20:21], v[10:11]
	v_fmac_f64_e32 v[20:21], v[24:25], v[12:13]
	v_cndmask_b32_e64 v12, 0, 0xffffff80, vcc_lo
	v_cmp_class_f64_e64 vcc_lo, v[10:11], 0x260
	s_delay_alu instid0(VALU_DEP_2) | instskip(NEXT) | instid1(VALU_DEP_1)
	v_ldexp_f64 v[12:13], v[20:21], v12
	v_dual_cndmask_b32 v11, v13, v11 :: v_dual_cndmask_b32 v10, v12, v10
	s_delay_alu instid0(VALU_DEP_1)
	v_mul_f64_e32 v[12:13], v[0:1], v[10:11]
.LBB50_70:
	s_or_b32 exec_lo, exec_lo, s2
	v_cmp_ne_u32_e32 vcc_lo, 1, v19
	v_cmp_eq_u32_e64 s2, 0, v22
	s_mov_b32 s5, -1
	s_cbranch_vccnz .LBB50_74
; %bb.71:
	v_cvt_f64_f32_e32 v[0:1], s3
	s_cmp_eq_u64 s[20:21], 8
	s_cselect_b32 vcc_lo, -1, 0
	s_delay_alu instid0(VALU_DEP_1) | instskip(NEXT) | instid1(VALU_DEP_1)
	v_dual_cndmask_b32 v1, v1, v17 :: v_dual_cndmask_b32 v0, v0, v16
	v_cmp_le_f64_e32 vcc_lo, v[12:13], v[0:1]
	s_and_b32 s5, s2, vcc_lo
	s_delay_alu instid0(SALU_CYCLE_1)
	s_and_saveexec_b32 s3, s5
	s_cbranch_execz .LBB50_73
; %bb.72:
	v_mov_b32_e32 v19, 0
	s_delay_alu instid0(VALU_DEP_1)
	v_lshl_add_u64 v[0:1], v[18:19], 4, s[8:9]
	global_store_b128 v[0:1], v[2:5], off
	global_wb scope:SCOPE_DEV
	s_wait_storecnt 0x0
	global_inv scope:SCOPE_DEV
.LBB50_73:
	s_wait_xcnt 0x0
	s_or_b32 exec_lo, exec_lo, s3
	s_mov_b32 s5, 0
.LBB50_74:
	s_delay_alu instid0(SALU_CYCLE_1)
	s_and_not1_b32 vcc_lo, exec_lo, s5
	s_cbranch_vccnz .LBB50_85
; %bb.75:
	s_load_b64 s[0:1], s[0:1], 0x48
	v_add_nc_u32_e32 v0, s28, v14
	s_wait_kmcnt 0x0
	v_cmp_ge_f64_e32 vcc_lo, s[0:1], v[12:13]
	s_and_b32 s1, s2, vcc_lo
	s_delay_alu instid0(SALU_CYCLE_1)
	s_and_saveexec_b32 s0, s1
	s_cbranch_execz .LBB50_80
; %bb.76:
	s_mov_b32 s3, exec_lo
	s_brev_b32 s1, -2
.LBB50_77:                              ; =>This Inner Loop Header: Depth=1
	s_ctz_i32_b32 s5, s3
	s_delay_alu instid0(SALU_CYCLE_1) | instskip(SKIP_1) | instid1(SALU_CYCLE_1)
	v_readlane_b32 s6, v0, s5
	s_lshl_b32 s5, 1, s5
	s_and_not1_b32 s3, s3, s5
	s_min_i32 s1, s1, s6
	s_cmp_lg_u32 s3, 0
	s_cbranch_scc1 .LBB50_77
; %bb.78:
	v_mbcnt_lo_u32_b32 v1, exec_lo, 0
	s_mov_b32 s3, exec_lo
	s_delay_alu instid0(VALU_DEP_1)
	v_cmpx_eq_u32_e32 0, v1
	s_xor_b32 s3, exec_lo, s3
	s_cbranch_execz .LBB50_80
; %bb.79:
	v_dual_mov_b32 v1, 0 :: v_dual_mov_b32 v2, s1
	global_atomic_min_i32 v1, v2, s[18:19] scope:SCOPE_DEV
.LBB50_80:
	s_wait_xcnt 0x0
	s_or_b32 exec_lo, exec_lo, s0
	v_cmp_eq_f64_e32 vcc_lo, 0, v[6:7]
	v_cmp_eq_f64_e64 s0, 0, v[8:9]
	s_and_b32 s0, vcc_lo, s0
	s_delay_alu instid0(SALU_CYCLE_1) | instskip(NEXT) | instid1(SALU_CYCLE_1)
	s_and_b32 s0, s2, s0
	s_and_b32 exec_lo, exec_lo, s0
	s_cbranch_execz .LBB50_85
; %bb.81:
	s_mov_b32 s1, exec_lo
	s_brev_b32 s0, -2
.LBB50_82:                              ; =>This Inner Loop Header: Depth=1
	s_ctz_i32_b32 s2, s1
	s_delay_alu instid0(SALU_CYCLE_1) | instskip(SKIP_1) | instid1(SALU_CYCLE_1)
	v_readlane_b32 s3, v0, s2
	s_lshl_b32 s2, 1, s2
	s_and_not1_b32 s1, s1, s2
	s_min_i32 s0, s0, s3
	s_cmp_lg_u32 s1, 0
	s_cbranch_scc1 .LBB50_82
; %bb.83:
	v_mbcnt_lo_u32_b32 v0, exec_lo, 0
	s_mov_b32 s1, exec_lo
	s_delay_alu instid0(VALU_DEP_1)
	v_cmpx_eq_u32_e32 0, v0
	s_xor_b32 s1, exec_lo, s1
	s_cbranch_execz .LBB50_85
; %bb.84:
	v_dual_mov_b32 v0, 0 :: v_dual_mov_b32 v1, s0
	global_atomic_min_i32 v0, v1, s[16:17] scope:SCOPE_DEV
.LBB50_85:
	s_wait_xcnt 0x0
	s_or_b32 exec_lo, exec_lo, s4
	v_cmp_eq_u32_e32 vcc_lo, 0, v22
	global_wb scope:SCOPE_DEV
	s_wait_loadcnt 0x0
	s_wait_storecnt 0x0
	global_inv scope:SCOPE_DEV
	s_and_b32 exec_lo, exec_lo, vcc_lo
	s_cbranch_execz .LBB50_87
; %bb.86:
	v_lshl_add_u64 v[0:1], v[14:15], 2, s[12:13]
	v_mov_b32_e32 v2, 1
	global_wb scope:SCOPE_DEV
	s_wait_loadcnt 0x0
	s_wait_storecnt 0x0
	global_store_b32 v[0:1], v2, off scope:SCOPE_DEV
.LBB50_87:
	s_endpgm
	.section	.rodata,"a",@progbits
	.p2align	6, 0x0
	.amdhsa_kernel _ZN9rocsparseL12csrilu0_hashILj256ELj64ELj16E21rocsparse_complex_numIdEEEviPKiS4_PT2_S4_PiS4_S7_S7_d21rocsparse_index_base_imNS_24const_host_device_scalarIfEENS9_IdEENS9_IS5_EEb
		.amdhsa_group_segment_fixed_size 32768
		.amdhsa_private_segment_fixed_size 16
		.amdhsa_kernarg_size 132
		.amdhsa_user_sgpr_count 2
		.amdhsa_user_sgpr_dispatch_ptr 0
		.amdhsa_user_sgpr_queue_ptr 0
		.amdhsa_user_sgpr_kernarg_segment_ptr 1
		.amdhsa_user_sgpr_dispatch_id 0
		.amdhsa_user_sgpr_kernarg_preload_length 0
		.amdhsa_user_sgpr_kernarg_preload_offset 0
		.amdhsa_user_sgpr_private_segment_size 0
		.amdhsa_wavefront_size32 1
		.amdhsa_uses_dynamic_stack 0
		.amdhsa_enable_private_segment 1
		.amdhsa_system_sgpr_workgroup_id_x 1
		.amdhsa_system_sgpr_workgroup_id_y 0
		.amdhsa_system_sgpr_workgroup_id_z 0
		.amdhsa_system_sgpr_workgroup_info 0
		.amdhsa_system_vgpr_workitem_id 0
		.amdhsa_next_free_vgpr 38
		.amdhsa_next_free_sgpr 40
		.amdhsa_named_barrier_count 0
		.amdhsa_reserve_vcc 1
		.amdhsa_float_round_mode_32 0
		.amdhsa_float_round_mode_16_64 0
		.amdhsa_float_denorm_mode_32 3
		.amdhsa_float_denorm_mode_16_64 3
		.amdhsa_fp16_overflow 0
		.amdhsa_memory_ordered 1
		.amdhsa_forward_progress 1
		.amdhsa_inst_pref_size 29
		.amdhsa_round_robin_scheduling 0
		.amdhsa_exception_fp_ieee_invalid_op 0
		.amdhsa_exception_fp_denorm_src 0
		.amdhsa_exception_fp_ieee_div_zero 0
		.amdhsa_exception_fp_ieee_overflow 0
		.amdhsa_exception_fp_ieee_underflow 0
		.amdhsa_exception_fp_ieee_inexact 0
		.amdhsa_exception_int_div_zero 0
	.end_amdhsa_kernel
	.section	.text._ZN9rocsparseL12csrilu0_hashILj256ELj64ELj16E21rocsparse_complex_numIdEEEviPKiS4_PT2_S4_PiS4_S7_S7_d21rocsparse_index_base_imNS_24const_host_device_scalarIfEENS9_IdEENS9_IS5_EEb,"axG",@progbits,_ZN9rocsparseL12csrilu0_hashILj256ELj64ELj16E21rocsparse_complex_numIdEEEviPKiS4_PT2_S4_PiS4_S7_S7_d21rocsparse_index_base_imNS_24const_host_device_scalarIfEENS9_IdEENS9_IS5_EEb,comdat
.Lfunc_end50:
	.size	_ZN9rocsparseL12csrilu0_hashILj256ELj64ELj16E21rocsparse_complex_numIdEEEviPKiS4_PT2_S4_PiS4_S7_S7_d21rocsparse_index_base_imNS_24const_host_device_scalarIfEENS9_IdEENS9_IS5_EEb, .Lfunc_end50-_ZN9rocsparseL12csrilu0_hashILj256ELj64ELj16E21rocsparse_complex_numIdEEEviPKiS4_PT2_S4_PiS4_S7_S7_d21rocsparse_index_base_imNS_24const_host_device_scalarIfEENS9_IdEENS9_IS5_EEb
                                        ; -- End function
	.set _ZN9rocsparseL12csrilu0_hashILj256ELj64ELj16E21rocsparse_complex_numIdEEEviPKiS4_PT2_S4_PiS4_S7_S7_d21rocsparse_index_base_imNS_24const_host_device_scalarIfEENS9_IdEENS9_IS5_EEb.num_vgpr, 38
	.set _ZN9rocsparseL12csrilu0_hashILj256ELj64ELj16E21rocsparse_complex_numIdEEEviPKiS4_PT2_S4_PiS4_S7_S7_d21rocsparse_index_base_imNS_24const_host_device_scalarIfEENS9_IdEENS9_IS5_EEb.num_agpr, 0
	.set _ZN9rocsparseL12csrilu0_hashILj256ELj64ELj16E21rocsparse_complex_numIdEEEviPKiS4_PT2_S4_PiS4_S7_S7_d21rocsparse_index_base_imNS_24const_host_device_scalarIfEENS9_IdEENS9_IS5_EEb.numbered_sgpr, 40
	.set _ZN9rocsparseL12csrilu0_hashILj256ELj64ELj16E21rocsparse_complex_numIdEEEviPKiS4_PT2_S4_PiS4_S7_S7_d21rocsparse_index_base_imNS_24const_host_device_scalarIfEENS9_IdEENS9_IS5_EEb.num_named_barrier, 0
	.set _ZN9rocsparseL12csrilu0_hashILj256ELj64ELj16E21rocsparse_complex_numIdEEEviPKiS4_PT2_S4_PiS4_S7_S7_d21rocsparse_index_base_imNS_24const_host_device_scalarIfEENS9_IdEENS9_IS5_EEb.private_seg_size, 16
	.set _ZN9rocsparseL12csrilu0_hashILj256ELj64ELj16E21rocsparse_complex_numIdEEEviPKiS4_PT2_S4_PiS4_S7_S7_d21rocsparse_index_base_imNS_24const_host_device_scalarIfEENS9_IdEENS9_IS5_EEb.uses_vcc, 1
	.set _ZN9rocsparseL12csrilu0_hashILj256ELj64ELj16E21rocsparse_complex_numIdEEEviPKiS4_PT2_S4_PiS4_S7_S7_d21rocsparse_index_base_imNS_24const_host_device_scalarIfEENS9_IdEENS9_IS5_EEb.uses_flat_scratch, 0
	.set _ZN9rocsparseL12csrilu0_hashILj256ELj64ELj16E21rocsparse_complex_numIdEEEviPKiS4_PT2_S4_PiS4_S7_S7_d21rocsparse_index_base_imNS_24const_host_device_scalarIfEENS9_IdEENS9_IS5_EEb.has_dyn_sized_stack, 0
	.set _ZN9rocsparseL12csrilu0_hashILj256ELj64ELj16E21rocsparse_complex_numIdEEEviPKiS4_PT2_S4_PiS4_S7_S7_d21rocsparse_index_base_imNS_24const_host_device_scalarIfEENS9_IdEENS9_IS5_EEb.has_recursion, 0
	.set _ZN9rocsparseL12csrilu0_hashILj256ELj64ELj16E21rocsparse_complex_numIdEEEviPKiS4_PT2_S4_PiS4_S7_S7_d21rocsparse_index_base_imNS_24const_host_device_scalarIfEENS9_IdEENS9_IS5_EEb.has_indirect_call, 0
	.section	.AMDGPU.csdata,"",@progbits
; Kernel info:
; codeLenInByte = 3664
; TotalNumSgprs: 42
; NumVgprs: 38
; ScratchSize: 16
; MemoryBound: 0
; FloatMode: 240
; IeeeMode: 1
; LDSByteSize: 32768 bytes/workgroup (compile time only)
; SGPRBlocks: 0
; VGPRBlocks: 2
; NumSGPRsForWavesPerEU: 42
; NumVGPRsForWavesPerEU: 38
; NamedBarCnt: 0
; Occupancy: 16
; WaveLimiterHint : 1
; COMPUTE_PGM_RSRC2:SCRATCH_EN: 1
; COMPUTE_PGM_RSRC2:USER_SGPR: 2
; COMPUTE_PGM_RSRC2:TRAP_HANDLER: 0
; COMPUTE_PGM_RSRC2:TGID_X_EN: 1
; COMPUTE_PGM_RSRC2:TGID_Y_EN: 0
; COMPUTE_PGM_RSRC2:TGID_Z_EN: 0
; COMPUTE_PGM_RSRC2:TIDIG_COMP_CNT: 0
	.section	.text._ZN9rocsparseL17csrilu0_binsearchILj256ELj64ELb0E21rocsparse_complex_numIdEEEviPKiS4_PT2_S4_PiS4_S7_S7_d21rocsparse_index_base_imNS_24const_host_device_scalarIfEENS9_IdEENS9_IS5_EEb,"axG",@progbits,_ZN9rocsparseL17csrilu0_binsearchILj256ELj64ELb0E21rocsparse_complex_numIdEEEviPKiS4_PT2_S4_PiS4_S7_S7_d21rocsparse_index_base_imNS_24const_host_device_scalarIfEENS9_IdEENS9_IS5_EEb,comdat
	.globl	_ZN9rocsparseL17csrilu0_binsearchILj256ELj64ELb0E21rocsparse_complex_numIdEEEviPKiS4_PT2_S4_PiS4_S7_S7_d21rocsparse_index_base_imNS_24const_host_device_scalarIfEENS9_IdEENS9_IS5_EEb ; -- Begin function _ZN9rocsparseL17csrilu0_binsearchILj256ELj64ELb0E21rocsparse_complex_numIdEEEviPKiS4_PT2_S4_PiS4_S7_S7_d21rocsparse_index_base_imNS_24const_host_device_scalarIfEENS9_IdEENS9_IS5_EEb
	.p2align	8
	.type	_ZN9rocsparseL17csrilu0_binsearchILj256ELj64ELb0E21rocsparse_complex_numIdEEEviPKiS4_PT2_S4_PiS4_S7_S7_d21rocsparse_index_base_imNS_24const_host_device_scalarIfEENS9_IdEENS9_IS5_EEb,@function
_ZN9rocsparseL17csrilu0_binsearchILj256ELj64ELb0E21rocsparse_complex_numIdEEEviPKiS4_PT2_S4_PiS4_S7_S7_d21rocsparse_index_base_imNS_24const_host_device_scalarIfEENS9_IdEENS9_IS5_EEb: ; @_ZN9rocsparseL17csrilu0_binsearchILj256ELj64ELb0E21rocsparse_complex_numIdEEEviPKiS4_PT2_S4_PiS4_S7_S7_d21rocsparse_index_base_imNS_24const_host_device_scalarIfEENS9_IdEENS9_IS5_EEb
; %bb.0:
	s_clause 0x2
	s_load_b96 s[4:6], s[0:1], 0x78
	s_load_b64 s[28:29], s[0:1], 0x50
	s_load_b256 s[20:27], s[0:1], 0x58
	s_wait_kmcnt 0x0
	s_bitcmp1_b32 s6, 0
	s_cselect_b32 s2, -1, 0
	s_cmp_eq_u32 s29, 0
	v_mov_b64_e32 v[2:3], s[26:27]
	s_cselect_b32 s3, -1, 0
	s_cmp_lg_u32 s29, 0
	s_cselect_b32 s8, -1, 0
	s_or_b32 s10, s3, s2
	s_delay_alu instid0(SALU_CYCLE_1)
	s_xor_b32 s9, s10, -1
	s_and_b32 s3, s3, exec_lo
	s_cselect_b32 s7, 0, s25
	s_cselect_b32 s6, 0, s24
	;; [unrolled: 1-line block ×3, first 2 shown]
	s_and_b32 vcc_lo, exec_lo, s10
	scratch_store_b64 off, v[2:3], off
	s_cbranch_vccnz .LBB51_2
; %bb.1:
	s_load_b32 s3, s[22:23], 0x0
	s_mov_b64 s[6:7], s[24:25]
.LBB51_2:
	s_delay_alu instid0(SALU_CYCLE_1)
	v_mov_b64_e32 v[16:17], s[6:7]
	s_and_not1_b32 vcc_lo, exec_lo, s9
	s_cbranch_vccnz .LBB51_4
; %bb.3:
	v_mov_b32_e32 v1, 0
	flat_load_b64 v[16:17], v1, s[24:25]
.LBB51_4:
	s_wait_xcnt 0x0
	v_mov_b64_e32 v[2:3], 0
	v_mov_b64_e32 v[4:5], 0
	v_cndmask_b32_e64 v19, 0, 1, s8
	s_and_not1_b32 vcc_lo, exec_lo, s8
	s_cbranch_vccnz .LBB51_7
; %bb.5:
	v_mbcnt_lo_u32_b32 v1, -1, 0
	v_mov_b32_e32 v2, 0
	v_mov_b64_e32 v[4:5], s[4:5]
	s_delay_alu instid0(VALU_DEP_3) | instskip(NEXT) | instid1(VALU_DEP_1)
	v_lshlrev_b32_e32 v3, 20, v1
	v_add_nc_u64_e32 v[2:3], src_flat_scratch_base_lo, v[2:3]
	s_delay_alu instid0(VALU_DEP_1) | instskip(NEXT) | instid1(VALU_DEP_2)
	v_cndmask_b32_e64 v3, s27, v3, s2
	v_cndmask_b32_e64 v2, s26, v2, s2
	s_xor_b32 s2, s2, -1
	s_delay_alu instid0(SALU_CYCLE_1)
	s_and_not1_b32 vcc_lo, exec_lo, s2
	flat_load_b64 v[2:3], v[2:3]
	s_cbranch_vccnz .LBB51_7
; %bb.6:
	v_mov_b32_e32 v1, 0
	flat_load_b64 v[4:5], v1, s[26:27] offset:8
.LBB51_7:
	s_load_b32 s2, s[0:1], 0x0
	s_bfe_u32 s4, ttmp6, 0x4000c
	s_and_b32 s5, ttmp6, 15
	s_add_co_i32 s4, s4, 1
	s_getreg_b32 s6, hwreg(HW_REG_IB_STS2, 6, 4)
	s_mul_i32 s4, ttmp9, s4
	v_lshrrev_b32_e32 v1, 6, v0
	s_add_co_i32 s5, s5, s4
	s_cmp_eq_u32 s6, 0
	s_cselect_b32 s4, ttmp9, s5
	s_delay_alu instid0(SALU_CYCLE_1) | instskip(NEXT) | instid1(SALU_CYCLE_1)
	s_lshl_b32 s4, s4, 2
	v_and_or_b32 v1, 0x3fffffc, s4, v1
	s_wait_kmcnt 0x0
	s_delay_alu instid0(VALU_DEP_1)
	v_cmp_gt_i32_e32 vcc_lo, s2, v1
	s_and_saveexec_b32 s2, vcc_lo
	s_cbranch_execz .LBB51_49
; %bb.8:
	s_load_b512 s[4:19], s[0:1], 0x8
	s_wait_kmcnt 0x0
	global_load_b32 v14, v1, s[14:15] scale_offset
	v_and_b32_e32 v24, 63, v0
	s_wait_xcnt 0x0
	s_mov_b32 s14, exec_lo
	s_wait_loadcnt 0x0
	s_clause 0x1
	global_load_b32 v1, v14, s[4:5] scale_offset
	global_load_b32 v18, v14, s[10:11] scale_offset
	v_ashrrev_i32_e32 v15, 31, v14
	s_wait_loadcnt 0x1
	v_subrev_nc_u32_e32 v20, s28, v1
	s_wait_loadcnt 0x0
	s_delay_alu instid0(VALU_DEP_1)
	v_cmpx_lt_i32_e64 v20, v18
	s_cbranch_execz .LBB51_25
; %bb.9:
	v_lshl_add_u64 v[0:1], v[14:15], 2, s[4:5]
	v_add_nc_u32_e32 v25, 1, v24
	s_mov_b32 s15, 0
	global_load_b32 v0, v[0:1], off offset:4
	s_wait_loadcnt 0x0
	v_xad_u32 v26, s28, -1, v0
	s_branch .LBB51_12
.LBB51_10:                              ;   in Loop: Header=BB51_12 Depth=1
	s_or_b32 exec_lo, exec_lo, s22
	v_cmp_ge_i32_e32 vcc_lo, v20, v18
	s_or_not1_b32 s22, vcc_lo, exec_lo
.LBB51_11:                              ;   in Loop: Header=BB51_12 Depth=1
	s_or_b32 exec_lo, exec_lo, s2
	s_delay_alu instid0(SALU_CYCLE_1) | instskip(NEXT) | instid1(SALU_CYCLE_1)
	s_and_b32 s2, exec_lo, s22
	s_or_b32 s15, s2, s15
	s_delay_alu instid0(SALU_CYCLE_1)
	s_and_not1_b32 exec_lo, exec_lo, s15
	s_cbranch_execz .LBB51_25
.LBB51_12:                              ; =>This Loop Header: Depth=1
                                        ;     Child Loop BB51_14 Depth 2
                                        ;     Child Loop BB51_19 Depth 2
                                        ;       Child Loop BB51_21 Depth 3
	s_clause 0x1
	global_load_b32 v0, v20, s[6:7] scale_offset
	global_load_b128 v[6:9], v20, s[8:9] scale_offset
	s_mov_b32 s2, exec_lo
	s_wait_loadcnt 0x1
	v_subrev_nc_u32_e32 v0, s28, v0
	s_clause 0x2
	global_load_b32 v11, v0, s[4:5] offset:4 scale_offset
	global_load_b32 v10, v0, s[10:11] scale_offset
	global_load_b32 v1, v0, s[12:13] scale_offset scope:SCOPE_DEV
	s_wait_loadcnt 0x0
	s_wait_xcnt 0x0
	v_cmpx_eq_u32_e32 0, v1
	s_cbranch_execz .LBB51_15
; %bb.13:                               ;   in Loop: Header=BB51_12 Depth=1
	v_ashrrev_i32_e32 v1, 31, v0
	s_mov_b32 s22, 0
	s_delay_alu instid0(VALU_DEP_1)
	v_lshl_add_u64 v[0:1], v[0:1], 2, s[12:13]
.LBB51_14:                              ;   Parent Loop BB51_12 Depth=1
                                        ; =>  This Inner Loop Header: Depth=2
	global_load_b32 v12, v[0:1], off scope:SCOPE_DEV
	s_wait_loadcnt 0x0
	v_cmp_ne_u32_e32 vcc_lo, 0, v12
	s_or_b32 s22, vcc_lo, s22
	s_wait_xcnt 0x0
	s_and_not1_b32 exec_lo, exec_lo, s22
	s_cbranch_execnz .LBB51_14
.LBB51_15:                              ;   in Loop: Header=BB51_12 Depth=1
	s_or_b32 exec_lo, exec_lo, s2
	v_ashrrev_i32_e32 v21, 31, v20
	v_cmp_eq_u32_e32 vcc_lo, -1, v10
	s_wait_storecnt_dscnt 0x0
	global_inv scope:SCOPE_DEV
	s_mov_b32 s22, -1
	v_lshl_add_u64 v[22:23], v[20:21], 4, s[8:9]
	v_subrev_nc_u32_e32 v21, s28, v11
	s_delay_alu instid0(VALU_DEP_1) | instskip(NEXT) | instid1(VALU_DEP_1)
	v_add_nc_u32_e32 v0, -1, v21
	v_cndmask_b32_e32 v0, v10, v0, vcc_lo
	global_load_b128 v[10:13], v0, s[8:9] scale_offset
	s_wait_loadcnt 0x0
	v_cmp_neq_f64_e32 vcc_lo, 0, v[10:11]
	v_cmp_neq_f64_e64 s2, 0, v[12:13]
	s_or_b32 s2, vcc_lo, s2
	s_wait_xcnt 0x0
	s_and_saveexec_b32 s23, s2
	s_delay_alu instid0(SALU_CYCLE_1)
	s_xor_b32 s2, exec_lo, s23
	s_cbranch_execz .LBB51_11
; %bb.16:                               ;   in Loop: Header=BB51_12 Depth=1
	v_mul_f64_e32 v[28:29], v[12:13], v[12:13]
	s_mov_b32 s22, exec_lo
	v_add_nc_u32_e32 v0, v25, v0
	v_add_nc_u32_e32 v20, 1, v20
	s_delay_alu instid0(VALU_DEP_3) | instskip(NEXT) | instid1(VALU_DEP_1)
	v_fmac_f64_e32 v[28:29], v[10:11], v[10:11]
	v_div_scale_f64 v[30:31], null, v[28:29], v[28:29], 1.0
	v_div_scale_f64 v[36:37], vcc_lo, 1.0, v[28:29], 1.0
	s_delay_alu instid0(VALU_DEP_2) | instskip(SKIP_1) | instid1(TRANS32_DEP_1)
	v_rcp_f64_e32 v[32:33], v[30:31]
	v_nop
	v_fma_f64 v[34:35], -v[30:31], v[32:33], 1.0
	s_delay_alu instid0(VALU_DEP_1) | instskip(NEXT) | instid1(VALU_DEP_1)
	v_fmac_f64_e32 v[32:33], v[32:33], v[34:35]
	v_fma_f64 v[34:35], -v[30:31], v[32:33], 1.0
	s_delay_alu instid0(VALU_DEP_1) | instskip(NEXT) | instid1(VALU_DEP_1)
	v_fmac_f64_e32 v[32:33], v[32:33], v[34:35]
	v_mul_f64_e32 v[34:35], v[36:37], v[32:33]
	s_delay_alu instid0(VALU_DEP_1) | instskip(SKIP_2) | instid1(VALU_DEP_3)
	v_fma_f64 v[30:31], -v[30:31], v[34:35], v[36:37]
	v_mul_f64_e32 v[36:37], v[8:9], v[12:13]
	v_mul_f64_e64 v[12:13], v[12:13], -v[6:7]
	v_div_fmas_f64 v[30:31], v[30:31], v[32:33], v[34:35]
	s_delay_alu instid0(VALU_DEP_3) | instskip(NEXT) | instid1(VALU_DEP_3)
	v_fmac_f64_e32 v[36:37], v[6:7], v[10:11]
	v_fmac_f64_e32 v[12:13], v[8:9], v[10:11]
	s_delay_alu instid0(VALU_DEP_3) | instskip(NEXT) | instid1(VALU_DEP_1)
	v_div_fixup_f64 v[28:29], v[30:31], v[28:29], 1.0
	v_mul_f64_e32 v[6:7], v[36:37], v[28:29]
	s_delay_alu instid0(VALU_DEP_3)
	v_mul_f64_e32 v[8:9], v[12:13], v[28:29]
	global_store_b128 v[22:23], v[6:9], off
	s_wait_xcnt 0x0
	v_cmpx_lt_i32_e64 v0, v21
	s_cbranch_execz .LBB51_10
; %bb.17:                               ;   in Loop: Header=BB51_12 Depth=1
	v_mov_b32_e32 v10, v20
	s_mov_b32 s23, 0
	s_branch .LBB51_19
.LBB51_18:                              ;   in Loop: Header=BB51_19 Depth=2
	s_wait_xcnt 0x0
	s_or_b32 exec_lo, exec_lo, s24
	v_add_nc_u32_e32 v0, 64, v0
	s_delay_alu instid0(VALU_DEP_1) | instskip(SKIP_1) | instid1(SALU_CYCLE_1)
	v_cmp_ge_i32_e32 vcc_lo, v0, v21
	s_or_b32 s23, vcc_lo, s23
	s_and_not1_b32 exec_lo, exec_lo, s23
	s_cbranch_execz .LBB51_10
.LBB51_19:                              ;   Parent Loop BB51_12 Depth=1
                                        ; =>  This Loop Header: Depth=2
                                        ;       Child Loop BB51_21 Depth 3
	s_delay_alu instid0(VALU_DEP_1) | instskip(SKIP_1) | instid1(VALU_DEP_1)
	v_add_nc_u32_e32 v1, v10, v26
	s_mov_b32 s24, exec_lo
	v_ashrrev_i32_e32 v1, 1, v1
	s_clause 0x1
	global_load_b32 v11, v0, s[6:7] scale_offset
	global_load_b32 v12, v1, s[6:7] scale_offset
	s_wait_xcnt 0x0
	v_cmpx_lt_i32_e64 v10, v26
	s_cbranch_execz .LBB51_23
; %bb.20:                               ;   in Loop: Header=BB51_19 Depth=2
	v_mov_b32_e32 v13, v26
	s_mov_b32 s25, 0
.LBB51_21:                              ;   Parent Loop BB51_12 Depth=1
                                        ;     Parent Loop BB51_19 Depth=2
                                        ; =>    This Inner Loop Header: Depth=3
	s_wait_loadcnt 0x0
	v_cmp_lt_i32_e32 vcc_lo, v12, v11
	s_delay_alu instid0(VALU_DEP_2) | instskip(SKIP_1) | instid1(VALU_DEP_1)
	v_cndmask_b32_e32 v13, v1, v13, vcc_lo
	v_add_nc_u32_e32 v22, 1, v1
	v_cndmask_b32_e32 v10, v10, v22, vcc_lo
	s_delay_alu instid0(VALU_DEP_1) | instskip(SKIP_1) | instid1(VALU_DEP_2)
	v_add_nc_u32_e32 v1, v13, v10
	v_cmp_ge_i32_e32 vcc_lo, v10, v13
	v_ashrrev_i32_e32 v1, 1, v1
	s_or_b32 s25, vcc_lo, s25
	global_load_b32 v12, v1, s[6:7] scale_offset
	s_wait_xcnt 0x0
	s_and_not1_b32 exec_lo, exec_lo, s25
	s_cbranch_execnz .LBB51_21
; %bb.22:                               ;   in Loop: Header=BB51_19 Depth=2
	s_or_b32 exec_lo, exec_lo, s25
.LBB51_23:                              ;   in Loop: Header=BB51_19 Depth=2
	s_delay_alu instid0(SALU_CYCLE_1)
	s_or_b32 exec_lo, exec_lo, s24
	v_ashrrev_i32_e32 v1, 31, v0
	s_mov_b32 s24, exec_lo
	s_wait_loadcnt 0x0
	v_cmpx_eq_u32_e64 v12, v11
	s_cbranch_execz .LBB51_18
; %bb.24:                               ;   in Loop: Header=BB51_19 Depth=2
	v_lshl_add_u64 v[12:13], v[0:1], 4, s[8:9]
	s_clause 0x1
	global_load_b128 v[28:31], v[12:13], off
	global_load_b128 v[32:35], v10, s[8:9] scale_offset
	s_wait_loadcnt 0x0
	v_fma_f64 v[32:33], -v[6:7], v[28:29], v[32:33]
	s_wait_xcnt 0x1
	v_fma_f64 v[12:13], -v[8:9], v[28:29], v[34:35]
	s_delay_alu instid0(VALU_DEP_2) | instskip(NEXT) | instid1(VALU_DEP_2)
	v_fmac_f64_e32 v[32:33], v[8:9], v[30:31]
	v_fma_f64 v[34:35], -v[6:7], v[30:31], v[12:13]
	global_store_b128 v10, v[32:35], s[8:9] scale_offset
	s_branch .LBB51_18
.LBB51_25:
	s_or_b32 exec_lo, exec_lo, s14
	s_delay_alu instid0(SALU_CYCLE_1)
	s_mov_b32 s4, exec_lo
	s_wait_storecnt_dscnt 0x0
	v_cmpx_lt_i32_e32 -1, v18
	s_cbranch_execz .LBB51_47
; %bb.26:
	global_load_b128 v[6:9], v18, s[8:9] scale_offset
	s_mov_b32 s2, exec_lo
                                        ; implicit-def: $vgpr12_vgpr13
	s_wait_loadcnt 0x0
	v_cmp_gt_f64_e32 vcc_lo, 0, v[6:7]
	v_xor_b32_e32 v1, 0x80000000, v7
	v_mov_b32_e32 v0, v6
	v_xor_b32_e32 v10, 0x80000000, v9
	s_delay_alu instid0(VALU_DEP_3) | instskip(SKIP_1) | instid1(VALU_DEP_3)
	v_cndmask_b32_e32 v1, v7, v1, vcc_lo
	v_cmp_gt_f64_e32 vcc_lo, 0, v[8:9]
	v_dual_cndmask_b32 v11, v9, v10 :: v_dual_mov_b32 v10, v8
	s_delay_alu instid0(VALU_DEP_1)
	v_cmpx_ngt_f64_e32 v[0:1], v[10:11]
	s_xor_b32 s2, exec_lo, s2
	s_cbranch_execz .LBB51_30
; %bb.27:
	v_mov_b64_e32 v[12:13], 0
	s_mov_b32 s5, exec_lo
	v_cmpx_neq_f64_e32 0, v[8:9]
	s_cbranch_execz .LBB51_29
; %bb.28:
	v_div_scale_f64 v[12:13], null, v[10:11], v[10:11], v[0:1]
	v_div_scale_f64 v[26:27], vcc_lo, v[0:1], v[10:11], v[0:1]
	s_delay_alu instid0(VALU_DEP_2) | instskip(SKIP_1) | instid1(TRANS32_DEP_1)
	v_rcp_f64_e32 v[20:21], v[12:13]
	v_nop
	v_fma_f64 v[22:23], -v[12:13], v[20:21], 1.0
	s_delay_alu instid0(VALU_DEP_1) | instskip(NEXT) | instid1(VALU_DEP_1)
	v_fmac_f64_e32 v[20:21], v[20:21], v[22:23]
	v_fma_f64 v[22:23], -v[12:13], v[20:21], 1.0
	s_delay_alu instid0(VALU_DEP_1) | instskip(NEXT) | instid1(VALU_DEP_1)
	v_fmac_f64_e32 v[20:21], v[20:21], v[22:23]
	v_mul_f64_e32 v[22:23], v[26:27], v[20:21]
	s_delay_alu instid0(VALU_DEP_1) | instskip(NEXT) | instid1(VALU_DEP_1)
	v_fma_f64 v[12:13], -v[12:13], v[22:23], v[26:27]
	v_div_fmas_f64 v[12:13], v[12:13], v[20:21], v[22:23]
	s_delay_alu instid0(VALU_DEP_1) | instskip(NEXT) | instid1(VALU_DEP_1)
	v_div_fixup_f64 v[0:1], v[12:13], v[10:11], v[0:1]
	v_fma_f64 v[0:1], v[0:1], v[0:1], 1.0
	s_delay_alu instid0(VALU_DEP_1) | instskip(SKIP_1) | instid1(VALU_DEP_1)
	v_cmp_gt_f64_e32 vcc_lo, 0x10000000, v[0:1]
	v_cndmask_b32_e64 v12, 0, 0x100, vcc_lo
	v_ldexp_f64 v[0:1], v[0:1], v12
	s_delay_alu instid0(VALU_DEP_1) | instskip(SKIP_1) | instid1(TRANS32_DEP_1)
	v_rsq_f64_e32 v[12:13], v[0:1]
	v_nop
	v_mul_f64_e32 v[20:21], v[0:1], v[12:13]
	v_mul_f64_e32 v[12:13], 0.5, v[12:13]
	s_delay_alu instid0(VALU_DEP_1) | instskip(NEXT) | instid1(VALU_DEP_1)
	v_fma_f64 v[22:23], -v[12:13], v[20:21], 0.5
	v_fmac_f64_e32 v[20:21], v[20:21], v[22:23]
	v_fmac_f64_e32 v[12:13], v[12:13], v[22:23]
	s_delay_alu instid0(VALU_DEP_2) | instskip(NEXT) | instid1(VALU_DEP_1)
	v_fma_f64 v[22:23], -v[20:21], v[20:21], v[0:1]
	v_fmac_f64_e32 v[20:21], v[22:23], v[12:13]
	s_delay_alu instid0(VALU_DEP_1) | instskip(NEXT) | instid1(VALU_DEP_1)
	v_fma_f64 v[22:23], -v[20:21], v[20:21], v[0:1]
	v_fmac_f64_e32 v[20:21], v[22:23], v[12:13]
	v_cndmask_b32_e64 v12, 0, 0xffffff80, vcc_lo
	v_cmp_class_f64_e64 vcc_lo, v[0:1], 0x260
	s_delay_alu instid0(VALU_DEP_2) | instskip(NEXT) | instid1(VALU_DEP_1)
	v_ldexp_f64 v[12:13], v[20:21], v12
	v_dual_cndmask_b32 v1, v13, v1 :: v_dual_cndmask_b32 v0, v12, v0
	s_delay_alu instid0(VALU_DEP_1)
	v_mul_f64_e32 v[12:13], v[10:11], v[0:1]
.LBB51_29:
	s_or_b32 exec_lo, exec_lo, s5
                                        ; implicit-def: $vgpr0_vgpr1
                                        ; implicit-def: $vgpr10_vgpr11
.LBB51_30:
	s_and_not1_saveexec_b32 s2, s2
	s_cbranch_execz .LBB51_32
; %bb.31:
	v_div_scale_f64 v[12:13], null, v[0:1], v[0:1], v[10:11]
	v_div_scale_f64 v[26:27], vcc_lo, v[10:11], v[0:1], v[10:11]
	s_delay_alu instid0(VALU_DEP_2) | instskip(SKIP_1) | instid1(TRANS32_DEP_1)
	v_rcp_f64_e32 v[20:21], v[12:13]
	v_nop
	v_fma_f64 v[22:23], -v[12:13], v[20:21], 1.0
	s_delay_alu instid0(VALU_DEP_1) | instskip(NEXT) | instid1(VALU_DEP_1)
	v_fmac_f64_e32 v[20:21], v[20:21], v[22:23]
	v_fma_f64 v[22:23], -v[12:13], v[20:21], 1.0
	s_delay_alu instid0(VALU_DEP_1) | instskip(NEXT) | instid1(VALU_DEP_1)
	v_fmac_f64_e32 v[20:21], v[20:21], v[22:23]
	v_mul_f64_e32 v[22:23], v[26:27], v[20:21]
	s_delay_alu instid0(VALU_DEP_1) | instskip(NEXT) | instid1(VALU_DEP_1)
	v_fma_f64 v[12:13], -v[12:13], v[22:23], v[26:27]
	v_div_fmas_f64 v[12:13], v[12:13], v[20:21], v[22:23]
	s_delay_alu instid0(VALU_DEP_1) | instskip(NEXT) | instid1(VALU_DEP_1)
	v_div_fixup_f64 v[10:11], v[12:13], v[0:1], v[10:11]
	v_fma_f64 v[10:11], v[10:11], v[10:11], 1.0
	s_delay_alu instid0(VALU_DEP_1) | instskip(SKIP_1) | instid1(VALU_DEP_1)
	v_cmp_gt_f64_e32 vcc_lo, 0x10000000, v[10:11]
	v_cndmask_b32_e64 v12, 0, 0x100, vcc_lo
	v_ldexp_f64 v[10:11], v[10:11], v12
	s_delay_alu instid0(VALU_DEP_1) | instskip(SKIP_1) | instid1(TRANS32_DEP_1)
	v_rsq_f64_e32 v[12:13], v[10:11]
	v_nop
	v_mul_f64_e32 v[20:21], v[10:11], v[12:13]
	v_mul_f64_e32 v[12:13], 0.5, v[12:13]
	s_delay_alu instid0(VALU_DEP_1) | instskip(NEXT) | instid1(VALU_DEP_1)
	v_fma_f64 v[22:23], -v[12:13], v[20:21], 0.5
	v_fmac_f64_e32 v[20:21], v[20:21], v[22:23]
	v_fmac_f64_e32 v[12:13], v[12:13], v[22:23]
	s_delay_alu instid0(VALU_DEP_2) | instskip(NEXT) | instid1(VALU_DEP_1)
	v_fma_f64 v[22:23], -v[20:21], v[20:21], v[10:11]
	v_fmac_f64_e32 v[20:21], v[22:23], v[12:13]
	s_delay_alu instid0(VALU_DEP_1) | instskip(NEXT) | instid1(VALU_DEP_1)
	v_fma_f64 v[22:23], -v[20:21], v[20:21], v[10:11]
	v_fmac_f64_e32 v[20:21], v[22:23], v[12:13]
	v_cndmask_b32_e64 v12, 0, 0xffffff80, vcc_lo
	v_cmp_class_f64_e64 vcc_lo, v[10:11], 0x260
	s_delay_alu instid0(VALU_DEP_2) | instskip(NEXT) | instid1(VALU_DEP_1)
	v_ldexp_f64 v[12:13], v[20:21], v12
	v_dual_cndmask_b32 v11, v13, v11 :: v_dual_cndmask_b32 v10, v12, v10
	s_delay_alu instid0(VALU_DEP_1)
	v_mul_f64_e32 v[12:13], v[0:1], v[10:11]
.LBB51_32:
	s_or_b32 exec_lo, exec_lo, s2
	v_cmp_ne_u32_e32 vcc_lo, 1, v19
	v_cmp_eq_u32_e64 s2, 0, v24
	s_mov_b32 s5, -1
	s_cbranch_vccnz .LBB51_36
; %bb.33:
	v_cvt_f64_f32_e32 v[0:1], s3
	s_cmp_eq_u64 s[20:21], 8
	s_cselect_b32 vcc_lo, -1, 0
	s_delay_alu instid0(VALU_DEP_1) | instskip(NEXT) | instid1(VALU_DEP_1)
	v_dual_cndmask_b32 v1, v1, v17 :: v_dual_cndmask_b32 v0, v0, v16
	v_cmp_le_f64_e32 vcc_lo, v[12:13], v[0:1]
	s_and_b32 s5, s2, vcc_lo
	s_delay_alu instid0(SALU_CYCLE_1)
	s_and_saveexec_b32 s3, s5
	s_cbranch_execz .LBB51_35
; %bb.34:
	v_mov_b32_e32 v19, 0
	s_delay_alu instid0(VALU_DEP_1)
	v_lshl_add_u64 v[0:1], v[18:19], 4, s[8:9]
	global_store_b128 v[0:1], v[2:5], off
.LBB51_35:
	s_wait_xcnt 0x0
	s_or_b32 exec_lo, exec_lo, s3
	s_mov_b32 s5, 0
.LBB51_36:
	s_delay_alu instid0(SALU_CYCLE_1)
	s_and_not1_b32 vcc_lo, exec_lo, s5
	s_cbranch_vccnz .LBB51_47
; %bb.37:
	s_load_b64 s[0:1], s[0:1], 0x48
	v_add_nc_u32_e32 v0, s28, v14
	s_wait_kmcnt 0x0
	v_cmp_ge_f64_e32 vcc_lo, s[0:1], v[12:13]
	s_and_b32 s1, s2, vcc_lo
	s_delay_alu instid0(SALU_CYCLE_1)
	s_and_saveexec_b32 s0, s1
	s_cbranch_execz .LBB51_42
; %bb.38:
	s_mov_b32 s3, exec_lo
	s_brev_b32 s1, -2
.LBB51_39:                              ; =>This Inner Loop Header: Depth=1
	s_ctz_i32_b32 s5, s3
	s_delay_alu instid0(SALU_CYCLE_1) | instskip(SKIP_1) | instid1(SALU_CYCLE_1)
	v_readlane_b32 s6, v0, s5
	s_lshl_b32 s5, 1, s5
	s_and_not1_b32 s3, s3, s5
	s_min_i32 s1, s1, s6
	s_cmp_lg_u32 s3, 0
	s_cbranch_scc1 .LBB51_39
; %bb.40:
	v_mbcnt_lo_u32_b32 v1, exec_lo, 0
	s_mov_b32 s3, exec_lo
	s_delay_alu instid0(VALU_DEP_1)
	v_cmpx_eq_u32_e32 0, v1
	s_xor_b32 s3, exec_lo, s3
	s_cbranch_execz .LBB51_42
; %bb.41:
	v_dual_mov_b32 v1, 0 :: v_dual_mov_b32 v2, s1
	global_atomic_min_i32 v1, v2, s[18:19] scope:SCOPE_DEV
.LBB51_42:
	s_wait_xcnt 0x0
	s_or_b32 exec_lo, exec_lo, s0
	v_cmp_eq_f64_e32 vcc_lo, 0, v[6:7]
	v_cmp_eq_f64_e64 s0, 0, v[8:9]
	s_and_b32 s0, vcc_lo, s0
	s_delay_alu instid0(SALU_CYCLE_1) | instskip(NEXT) | instid1(SALU_CYCLE_1)
	s_and_b32 s0, s2, s0
	s_and_b32 exec_lo, exec_lo, s0
	s_cbranch_execz .LBB51_47
; %bb.43:
	s_mov_b32 s1, exec_lo
	s_brev_b32 s0, -2
.LBB51_44:                              ; =>This Inner Loop Header: Depth=1
	s_ctz_i32_b32 s2, s1
	s_delay_alu instid0(SALU_CYCLE_1) | instskip(SKIP_1) | instid1(SALU_CYCLE_1)
	v_readlane_b32 s3, v0, s2
	s_lshl_b32 s2, 1, s2
	s_and_not1_b32 s1, s1, s2
	s_min_i32 s0, s0, s3
	s_cmp_lg_u32 s1, 0
	s_cbranch_scc1 .LBB51_44
; %bb.45:
	v_mbcnt_lo_u32_b32 v0, exec_lo, 0
	s_mov_b32 s1, exec_lo
	s_delay_alu instid0(VALU_DEP_1)
	v_cmpx_eq_u32_e32 0, v0
	s_xor_b32 s1, exec_lo, s1
	s_cbranch_execz .LBB51_47
; %bb.46:
	v_dual_mov_b32 v0, 0 :: v_dual_mov_b32 v1, s0
	global_atomic_min_i32 v0, v1, s[16:17] scope:SCOPE_DEV
.LBB51_47:
	s_wait_xcnt 0x0
	s_or_b32 exec_lo, exec_lo, s4
	v_cmp_eq_u32_e32 vcc_lo, 0, v24
	global_wb scope:SCOPE_DEV
	s_wait_storecnt 0x0
	global_inv scope:SCOPE_DEV
	s_and_b32 exec_lo, exec_lo, vcc_lo
	s_cbranch_execz .LBB51_49
; %bb.48:
	v_lshl_add_u64 v[0:1], v[14:15], 2, s[12:13]
	v_mov_b32_e32 v2, 1
	global_wb scope:SCOPE_DEV
	s_wait_loadcnt 0x0
	s_wait_storecnt 0x0
	global_store_b32 v[0:1], v2, off scope:SCOPE_DEV
.LBB51_49:
	s_endpgm
	.section	.rodata,"a",@progbits
	.p2align	6, 0x0
	.amdhsa_kernel _ZN9rocsparseL17csrilu0_binsearchILj256ELj64ELb0E21rocsparse_complex_numIdEEEviPKiS4_PT2_S4_PiS4_S7_S7_d21rocsparse_index_base_imNS_24const_host_device_scalarIfEENS9_IdEENS9_IS5_EEb
		.amdhsa_group_segment_fixed_size 0
		.amdhsa_private_segment_fixed_size 16
		.amdhsa_kernarg_size 132
		.amdhsa_user_sgpr_count 2
		.amdhsa_user_sgpr_dispatch_ptr 0
		.amdhsa_user_sgpr_queue_ptr 0
		.amdhsa_user_sgpr_kernarg_segment_ptr 1
		.amdhsa_user_sgpr_dispatch_id 0
		.amdhsa_user_sgpr_kernarg_preload_length 0
		.amdhsa_user_sgpr_kernarg_preload_offset 0
		.amdhsa_user_sgpr_private_segment_size 0
		.amdhsa_wavefront_size32 1
		.amdhsa_uses_dynamic_stack 0
		.amdhsa_enable_private_segment 1
		.amdhsa_system_sgpr_workgroup_id_x 1
		.amdhsa_system_sgpr_workgroup_id_y 0
		.amdhsa_system_sgpr_workgroup_id_z 0
		.amdhsa_system_sgpr_workgroup_info 0
		.amdhsa_system_vgpr_workitem_id 0
		.amdhsa_next_free_vgpr 38
		.amdhsa_next_free_sgpr 30
		.amdhsa_named_barrier_count 0
		.amdhsa_reserve_vcc 1
		.amdhsa_float_round_mode_32 0
		.amdhsa_float_round_mode_16_64 0
		.amdhsa_float_denorm_mode_32 3
		.amdhsa_float_denorm_mode_16_64 3
		.amdhsa_fp16_overflow 0
		.amdhsa_memory_ordered 1
		.amdhsa_forward_progress 1
		.amdhsa_inst_pref_size 19
		.amdhsa_round_robin_scheduling 0
		.amdhsa_exception_fp_ieee_invalid_op 0
		.amdhsa_exception_fp_denorm_src 0
		.amdhsa_exception_fp_ieee_div_zero 0
		.amdhsa_exception_fp_ieee_overflow 0
		.amdhsa_exception_fp_ieee_underflow 0
		.amdhsa_exception_fp_ieee_inexact 0
		.amdhsa_exception_int_div_zero 0
	.end_amdhsa_kernel
	.section	.text._ZN9rocsparseL17csrilu0_binsearchILj256ELj64ELb0E21rocsparse_complex_numIdEEEviPKiS4_PT2_S4_PiS4_S7_S7_d21rocsparse_index_base_imNS_24const_host_device_scalarIfEENS9_IdEENS9_IS5_EEb,"axG",@progbits,_ZN9rocsparseL17csrilu0_binsearchILj256ELj64ELb0E21rocsparse_complex_numIdEEEviPKiS4_PT2_S4_PiS4_S7_S7_d21rocsparse_index_base_imNS_24const_host_device_scalarIfEENS9_IdEENS9_IS5_EEb,comdat
.Lfunc_end51:
	.size	_ZN9rocsparseL17csrilu0_binsearchILj256ELj64ELb0E21rocsparse_complex_numIdEEEviPKiS4_PT2_S4_PiS4_S7_S7_d21rocsparse_index_base_imNS_24const_host_device_scalarIfEENS9_IdEENS9_IS5_EEb, .Lfunc_end51-_ZN9rocsparseL17csrilu0_binsearchILj256ELj64ELb0E21rocsparse_complex_numIdEEEviPKiS4_PT2_S4_PiS4_S7_S7_d21rocsparse_index_base_imNS_24const_host_device_scalarIfEENS9_IdEENS9_IS5_EEb
                                        ; -- End function
	.set _ZN9rocsparseL17csrilu0_binsearchILj256ELj64ELb0E21rocsparse_complex_numIdEEEviPKiS4_PT2_S4_PiS4_S7_S7_d21rocsparse_index_base_imNS_24const_host_device_scalarIfEENS9_IdEENS9_IS5_EEb.num_vgpr, 38
	.set _ZN9rocsparseL17csrilu0_binsearchILj256ELj64ELb0E21rocsparse_complex_numIdEEEviPKiS4_PT2_S4_PiS4_S7_S7_d21rocsparse_index_base_imNS_24const_host_device_scalarIfEENS9_IdEENS9_IS5_EEb.num_agpr, 0
	.set _ZN9rocsparseL17csrilu0_binsearchILj256ELj64ELb0E21rocsparse_complex_numIdEEEviPKiS4_PT2_S4_PiS4_S7_S7_d21rocsparse_index_base_imNS_24const_host_device_scalarIfEENS9_IdEENS9_IS5_EEb.numbered_sgpr, 30
	.set _ZN9rocsparseL17csrilu0_binsearchILj256ELj64ELb0E21rocsparse_complex_numIdEEEviPKiS4_PT2_S4_PiS4_S7_S7_d21rocsparse_index_base_imNS_24const_host_device_scalarIfEENS9_IdEENS9_IS5_EEb.num_named_barrier, 0
	.set _ZN9rocsparseL17csrilu0_binsearchILj256ELj64ELb0E21rocsparse_complex_numIdEEEviPKiS4_PT2_S4_PiS4_S7_S7_d21rocsparse_index_base_imNS_24const_host_device_scalarIfEENS9_IdEENS9_IS5_EEb.private_seg_size, 16
	.set _ZN9rocsparseL17csrilu0_binsearchILj256ELj64ELb0E21rocsparse_complex_numIdEEEviPKiS4_PT2_S4_PiS4_S7_S7_d21rocsparse_index_base_imNS_24const_host_device_scalarIfEENS9_IdEENS9_IS5_EEb.uses_vcc, 1
	.set _ZN9rocsparseL17csrilu0_binsearchILj256ELj64ELb0E21rocsparse_complex_numIdEEEviPKiS4_PT2_S4_PiS4_S7_S7_d21rocsparse_index_base_imNS_24const_host_device_scalarIfEENS9_IdEENS9_IS5_EEb.uses_flat_scratch, 0
	.set _ZN9rocsparseL17csrilu0_binsearchILj256ELj64ELb0E21rocsparse_complex_numIdEEEviPKiS4_PT2_S4_PiS4_S7_S7_d21rocsparse_index_base_imNS_24const_host_device_scalarIfEENS9_IdEENS9_IS5_EEb.has_dyn_sized_stack, 0
	.set _ZN9rocsparseL17csrilu0_binsearchILj256ELj64ELb0E21rocsparse_complex_numIdEEEviPKiS4_PT2_S4_PiS4_S7_S7_d21rocsparse_index_base_imNS_24const_host_device_scalarIfEENS9_IdEENS9_IS5_EEb.has_recursion, 0
	.set _ZN9rocsparseL17csrilu0_binsearchILj256ELj64ELb0E21rocsparse_complex_numIdEEEviPKiS4_PT2_S4_PiS4_S7_S7_d21rocsparse_index_base_imNS_24const_host_device_scalarIfEENS9_IdEENS9_IS5_EEb.has_indirect_call, 0
	.section	.AMDGPU.csdata,"",@progbits
; Kernel info:
; codeLenInByte = 2424
; TotalNumSgprs: 32
; NumVgprs: 38
; ScratchSize: 16
; MemoryBound: 0
; FloatMode: 240
; IeeeMode: 1
; LDSByteSize: 0 bytes/workgroup (compile time only)
; SGPRBlocks: 0
; VGPRBlocks: 2
; NumSGPRsForWavesPerEU: 32
; NumVGPRsForWavesPerEU: 38
; NamedBarCnt: 0
; Occupancy: 16
; WaveLimiterHint : 1
; COMPUTE_PGM_RSRC2:SCRATCH_EN: 1
; COMPUTE_PGM_RSRC2:USER_SGPR: 2
; COMPUTE_PGM_RSRC2:TRAP_HANDLER: 0
; COMPUTE_PGM_RSRC2:TGID_X_EN: 1
; COMPUTE_PGM_RSRC2:TGID_Y_EN: 0
; COMPUTE_PGM_RSRC2:TGID_Z_EN: 0
; COMPUTE_PGM_RSRC2:TIDIG_COMP_CNT: 0
	.section	.AMDGPU.gpr_maximums,"",@progbits
	.set amdgpu.max_num_vgpr, 0
	.set amdgpu.max_num_agpr, 0
	.set amdgpu.max_num_sgpr, 0
	.section	.AMDGPU.csdata,"",@progbits
	.type	__hip_cuid_a246b8c1c89a0ff3,@object ; @__hip_cuid_a246b8c1c89a0ff3
	.section	.bss,"aw",@nobits
	.globl	__hip_cuid_a246b8c1c89a0ff3
__hip_cuid_a246b8c1c89a0ff3:
	.byte	0                               ; 0x0
	.size	__hip_cuid_a246b8c1c89a0ff3, 1

	.ident	"AMD clang version 22.0.0git (https://github.com/RadeonOpenCompute/llvm-project roc-7.2.4 26084 f58b06dce1f9c15707c5f808fd002e18c2accf7e)"
	.section	".note.GNU-stack","",@progbits
	.addrsig
	.addrsig_sym __hip_cuid_a246b8c1c89a0ff3
	.amdgpu_metadata
---
amdhsa.kernels:
  - .args:
      - .offset:         0
        .size:           4
        .value_kind:     by_value
      - .address_space:  global
        .offset:         8
        .size:           8
        .value_kind:     global_buffer
      - .address_space:  global
        .offset:         16
        .size:           8
        .value_kind:     global_buffer
      - .address_space:  global
        .offset:         24
        .size:           8
        .value_kind:     global_buffer
      - .address_space:  global
        .offset:         32
        .size:           8
        .value_kind:     global_buffer
      - .address_space:  global
        .offset:         40
        .size:           8
        .value_kind:     global_buffer
      - .address_space:  global
        .offset:         48
        .size:           8
        .value_kind:     global_buffer
      - .address_space:  global
        .offset:         56
        .size:           8
        .value_kind:     global_buffer
      - .address_space:  global
        .offset:         64
        .size:           8
        .value_kind:     global_buffer
      - .offset:         72
        .size:           8
        .value_kind:     by_value
      - .offset:         80
        .size:           4
        .value_kind:     by_value
      - .offset:         84
        .size:           4
        .value_kind:     by_value
      - .offset:         88
        .size:           8
        .value_kind:     by_value
      - .offset:         96
        .size:           8
        .value_kind:     by_value
      - .offset:         104
        .size:           8
        .value_kind:     by_value
      - .offset:         112
        .size:           8
        .value_kind:     by_value
      - .offset:         120
        .size:           1
        .value_kind:     by_value
    .group_segment_fixed_size: 0
    .kernarg_segment_align: 8
    .kernarg_segment_size: 124
    .language:       OpenCL C
    .language_version:
      - 2
      - 0
    .max_flat_workgroup_size: 256
    .name:           _ZN9rocsparseL17csrilu0_binsearchILj256ELj64ELb1EfEEviPKiS2_PT2_S2_PiS2_S5_S5_d21rocsparse_index_base_imNS_24const_host_device_scalarIfEENS7_IdEENS7_IS3_EEb
    .private_segment_fixed_size: 0
    .sgpr_count:     33
    .sgpr_spill_count: 0
    .symbol:         _ZN9rocsparseL17csrilu0_binsearchILj256ELj64ELb1EfEEviPKiS2_PT2_S2_PiS2_S5_S5_d21rocsparse_index_base_imNS_24const_host_device_scalarIfEENS7_IdEENS7_IS3_EEb.kd
    .uniform_work_group_size: 1
    .uses_dynamic_stack: false
    .vgpr_count:     20
    .vgpr_spill_count: 0
    .wavefront_size: 32
  - .args:
      - .offset:         0
        .size:           4
        .value_kind:     by_value
      - .address_space:  global
        .offset:         8
        .size:           8
        .value_kind:     global_buffer
      - .address_space:  global
        .offset:         16
        .size:           8
        .value_kind:     global_buffer
      - .address_space:  global
        .offset:         24
        .size:           8
        .value_kind:     global_buffer
      - .address_space:  global
        .offset:         32
        .size:           8
        .value_kind:     global_buffer
      - .address_space:  global
        .offset:         40
        .size:           8
        .value_kind:     global_buffer
      - .address_space:  global
        .offset:         48
        .size:           8
        .value_kind:     global_buffer
      - .address_space:  global
        .offset:         56
        .size:           8
        .value_kind:     global_buffer
      - .address_space:  global
        .offset:         64
        .size:           8
        .value_kind:     global_buffer
      - .offset:         72
        .size:           8
        .value_kind:     by_value
      - .offset:         80
        .size:           4
        .value_kind:     by_value
      - .offset:         84
        .size:           4
        .value_kind:     by_value
      - .offset:         88
        .size:           8
        .value_kind:     by_value
      - .offset:         96
        .size:           8
        .value_kind:     by_value
      - .offset:         104
        .size:           8
        .value_kind:     by_value
      - .offset:         112
        .size:           8
        .value_kind:     by_value
      - .offset:         120
        .size:           1
        .value_kind:     by_value
    .group_segment_fixed_size: 2048
    .kernarg_segment_align: 8
    .kernarg_segment_size: 124
    .language:       OpenCL C
    .language_version:
      - 2
      - 0
    .max_flat_workgroup_size: 256
    .name:           _ZN9rocsparseL12csrilu0_hashILj256ELj32ELj1EfEEviPKiS2_PT2_S2_PiS2_S5_S5_d21rocsparse_index_base_imNS_24const_host_device_scalarIfEENS7_IdEENS7_IS3_EEb
    .private_segment_fixed_size: 0
    .sgpr_count:     44
    .sgpr_spill_count: 0
    .symbol:         _ZN9rocsparseL12csrilu0_hashILj256ELj32ELj1EfEEviPKiS2_PT2_S2_PiS2_S5_S5_d21rocsparse_index_base_imNS_24const_host_device_scalarIfEENS7_IdEENS7_IS3_EEb.kd
    .uniform_work_group_size: 1
    .uses_dynamic_stack: false
    .vgpr_count:     21
    .vgpr_spill_count: 0
    .wavefront_size: 32
  - .args:
      - .offset:         0
        .size:           4
        .value_kind:     by_value
      - .address_space:  global
        .offset:         8
        .size:           8
        .value_kind:     global_buffer
      - .address_space:  global
        .offset:         16
        .size:           8
        .value_kind:     global_buffer
      - .address_space:  global
        .offset:         24
        .size:           8
        .value_kind:     global_buffer
      - .address_space:  global
        .offset:         32
        .size:           8
        .value_kind:     global_buffer
      - .address_space:  global
        .offset:         40
        .size:           8
        .value_kind:     global_buffer
      - .address_space:  global
        .offset:         48
        .size:           8
        .value_kind:     global_buffer
      - .address_space:  global
        .offset:         56
        .size:           8
        .value_kind:     global_buffer
      - .address_space:  global
        .offset:         64
        .size:           8
        .value_kind:     global_buffer
      - .offset:         72
        .size:           8
        .value_kind:     by_value
      - .offset:         80
        .size:           4
        .value_kind:     by_value
      - .offset:         84
        .size:           4
        .value_kind:     by_value
      - .offset:         88
        .size:           8
        .value_kind:     by_value
      - .offset:         96
        .size:           8
        .value_kind:     by_value
      - .offset:         104
        .size:           8
        .value_kind:     by_value
      - .offset:         112
        .size:           8
        .value_kind:     by_value
      - .offset:         120
        .size:           1
        .value_kind:     by_value
    .group_segment_fixed_size: 4096
    .kernarg_segment_align: 8
    .kernarg_segment_size: 124
    .language:       OpenCL C
    .language_version:
      - 2
      - 0
    .max_flat_workgroup_size: 256
    .name:           _ZN9rocsparseL12csrilu0_hashILj256ELj32ELj2EfEEviPKiS2_PT2_S2_PiS2_S5_S5_d21rocsparse_index_base_imNS_24const_host_device_scalarIfEENS7_IdEENS7_IS3_EEb
    .private_segment_fixed_size: 0
    .sgpr_count:     44
    .sgpr_spill_count: 0
    .symbol:         _ZN9rocsparseL12csrilu0_hashILj256ELj32ELj2EfEEviPKiS2_PT2_S2_PiS2_S5_S5_d21rocsparse_index_base_imNS_24const_host_device_scalarIfEENS7_IdEENS7_IS3_EEb.kd
    .uniform_work_group_size: 1
    .uses_dynamic_stack: false
    .vgpr_count:     21
    .vgpr_spill_count: 0
    .wavefront_size: 32
  - .args:
      - .offset:         0
        .size:           4
        .value_kind:     by_value
      - .address_space:  global
        .offset:         8
        .size:           8
        .value_kind:     global_buffer
      - .address_space:  global
        .offset:         16
        .size:           8
        .value_kind:     global_buffer
      - .address_space:  global
        .offset:         24
        .size:           8
        .value_kind:     global_buffer
      - .address_space:  global
        .offset:         32
        .size:           8
        .value_kind:     global_buffer
      - .address_space:  global
        .offset:         40
        .size:           8
        .value_kind:     global_buffer
      - .address_space:  global
        .offset:         48
        .size:           8
        .value_kind:     global_buffer
      - .address_space:  global
        .offset:         56
        .size:           8
        .value_kind:     global_buffer
      - .address_space:  global
        .offset:         64
        .size:           8
        .value_kind:     global_buffer
      - .offset:         72
        .size:           8
        .value_kind:     by_value
      - .offset:         80
        .size:           4
        .value_kind:     by_value
      - .offset:         84
        .size:           4
        .value_kind:     by_value
      - .offset:         88
        .size:           8
        .value_kind:     by_value
      - .offset:         96
        .size:           8
        .value_kind:     by_value
      - .offset:         104
        .size:           8
        .value_kind:     by_value
      - .offset:         112
        .size:           8
        .value_kind:     by_value
      - .offset:         120
        .size:           1
        .value_kind:     by_value
    .group_segment_fixed_size: 8192
    .kernarg_segment_align: 8
    .kernarg_segment_size: 124
    .language:       OpenCL C
    .language_version:
      - 2
      - 0
    .max_flat_workgroup_size: 256
    .name:           _ZN9rocsparseL12csrilu0_hashILj256ELj32ELj4EfEEviPKiS2_PT2_S2_PiS2_S5_S5_d21rocsparse_index_base_imNS_24const_host_device_scalarIfEENS7_IdEENS7_IS3_EEb
    .private_segment_fixed_size: 0
    .sgpr_count:     44
    .sgpr_spill_count: 0
    .symbol:         _ZN9rocsparseL12csrilu0_hashILj256ELj32ELj4EfEEviPKiS2_PT2_S2_PiS2_S5_S5_d21rocsparse_index_base_imNS_24const_host_device_scalarIfEENS7_IdEENS7_IS3_EEb.kd
    .uniform_work_group_size: 1
    .uses_dynamic_stack: false
    .vgpr_count:     21
    .vgpr_spill_count: 0
    .wavefront_size: 32
  - .args:
      - .offset:         0
        .size:           4
        .value_kind:     by_value
      - .address_space:  global
        .offset:         8
        .size:           8
        .value_kind:     global_buffer
      - .address_space:  global
        .offset:         16
        .size:           8
        .value_kind:     global_buffer
      - .address_space:  global
        .offset:         24
        .size:           8
        .value_kind:     global_buffer
      - .address_space:  global
        .offset:         32
        .size:           8
        .value_kind:     global_buffer
      - .address_space:  global
        .offset:         40
        .size:           8
        .value_kind:     global_buffer
      - .address_space:  global
        .offset:         48
        .size:           8
        .value_kind:     global_buffer
      - .address_space:  global
        .offset:         56
        .size:           8
        .value_kind:     global_buffer
      - .address_space:  global
        .offset:         64
        .size:           8
        .value_kind:     global_buffer
      - .offset:         72
        .size:           8
        .value_kind:     by_value
      - .offset:         80
        .size:           4
        .value_kind:     by_value
      - .offset:         84
        .size:           4
        .value_kind:     by_value
      - .offset:         88
        .size:           8
        .value_kind:     by_value
      - .offset:         96
        .size:           8
        .value_kind:     by_value
      - .offset:         104
        .size:           8
        .value_kind:     by_value
      - .offset:         112
        .size:           8
        .value_kind:     by_value
      - .offset:         120
        .size:           1
        .value_kind:     by_value
    .group_segment_fixed_size: 16384
    .kernarg_segment_align: 8
    .kernarg_segment_size: 124
    .language:       OpenCL C
    .language_version:
      - 2
      - 0
    .max_flat_workgroup_size: 256
    .name:           _ZN9rocsparseL12csrilu0_hashILj256ELj32ELj8EfEEviPKiS2_PT2_S2_PiS2_S5_S5_d21rocsparse_index_base_imNS_24const_host_device_scalarIfEENS7_IdEENS7_IS3_EEb
    .private_segment_fixed_size: 0
    .sgpr_count:     44
    .sgpr_spill_count: 0
    .symbol:         _ZN9rocsparseL12csrilu0_hashILj256ELj32ELj8EfEEviPKiS2_PT2_S2_PiS2_S5_S5_d21rocsparse_index_base_imNS_24const_host_device_scalarIfEENS7_IdEENS7_IS3_EEb.kd
    .uniform_work_group_size: 1
    .uses_dynamic_stack: false
    .vgpr_count:     21
    .vgpr_spill_count: 0
    .wavefront_size: 32
  - .args:
      - .offset:         0
        .size:           4
        .value_kind:     by_value
      - .address_space:  global
        .offset:         8
        .size:           8
        .value_kind:     global_buffer
      - .address_space:  global
        .offset:         16
        .size:           8
        .value_kind:     global_buffer
      - .address_space:  global
        .offset:         24
        .size:           8
        .value_kind:     global_buffer
      - .address_space:  global
        .offset:         32
        .size:           8
        .value_kind:     global_buffer
      - .address_space:  global
        .offset:         40
        .size:           8
        .value_kind:     global_buffer
      - .address_space:  global
        .offset:         48
        .size:           8
        .value_kind:     global_buffer
      - .address_space:  global
        .offset:         56
        .size:           8
        .value_kind:     global_buffer
      - .address_space:  global
        .offset:         64
        .size:           8
        .value_kind:     global_buffer
      - .offset:         72
        .size:           8
        .value_kind:     by_value
      - .offset:         80
        .size:           4
        .value_kind:     by_value
      - .offset:         84
        .size:           4
        .value_kind:     by_value
      - .offset:         88
        .size:           8
        .value_kind:     by_value
      - .offset:         96
        .size:           8
        .value_kind:     by_value
      - .offset:         104
        .size:           8
        .value_kind:     by_value
      - .offset:         112
        .size:           8
        .value_kind:     by_value
      - .offset:         120
        .size:           1
        .value_kind:     by_value
    .group_segment_fixed_size: 32768
    .kernarg_segment_align: 8
    .kernarg_segment_size: 124
    .language:       OpenCL C
    .language_version:
      - 2
      - 0
    .max_flat_workgroup_size: 256
    .name:           _ZN9rocsparseL12csrilu0_hashILj256ELj32ELj16EfEEviPKiS2_PT2_S2_PiS2_S5_S5_d21rocsparse_index_base_imNS_24const_host_device_scalarIfEENS7_IdEENS7_IS3_EEb
    .private_segment_fixed_size: 0
    .sgpr_count:     44
    .sgpr_spill_count: 0
    .symbol:         _ZN9rocsparseL12csrilu0_hashILj256ELj32ELj16EfEEviPKiS2_PT2_S2_PiS2_S5_S5_d21rocsparse_index_base_imNS_24const_host_device_scalarIfEENS7_IdEENS7_IS3_EEb.kd
    .uniform_work_group_size: 1
    .uses_dynamic_stack: false
    .vgpr_count:     21
    .vgpr_spill_count: 0
    .wavefront_size: 32
  - .args:
      - .offset:         0
        .size:           4
        .value_kind:     by_value
      - .address_space:  global
        .offset:         8
        .size:           8
        .value_kind:     global_buffer
      - .address_space:  global
        .offset:         16
        .size:           8
        .value_kind:     global_buffer
      - .address_space:  global
        .offset:         24
        .size:           8
        .value_kind:     global_buffer
      - .address_space:  global
        .offset:         32
        .size:           8
        .value_kind:     global_buffer
      - .address_space:  global
        .offset:         40
        .size:           8
        .value_kind:     global_buffer
      - .address_space:  global
        .offset:         48
        .size:           8
        .value_kind:     global_buffer
      - .address_space:  global
        .offset:         56
        .size:           8
        .value_kind:     global_buffer
      - .address_space:  global
        .offset:         64
        .size:           8
        .value_kind:     global_buffer
      - .offset:         72
        .size:           8
        .value_kind:     by_value
      - .offset:         80
        .size:           4
        .value_kind:     by_value
      - .offset:         84
        .size:           4
        .value_kind:     by_value
      - .offset:         88
        .size:           8
        .value_kind:     by_value
      - .offset:         96
        .size:           8
        .value_kind:     by_value
      - .offset:         104
        .size:           8
        .value_kind:     by_value
      - .offset:         112
        .size:           8
        .value_kind:     by_value
      - .offset:         120
        .size:           1
        .value_kind:     by_value
    .group_segment_fixed_size: 0
    .kernarg_segment_align: 8
    .kernarg_segment_size: 124
    .language:       OpenCL C
    .language_version:
      - 2
      - 0
    .max_flat_workgroup_size: 256
    .name:           _ZN9rocsparseL17csrilu0_binsearchILj256ELj32ELb0EfEEviPKiS2_PT2_S2_PiS2_S5_S5_d21rocsparse_index_base_imNS_24const_host_device_scalarIfEENS7_IdEENS7_IS3_EEb
    .private_segment_fixed_size: 0
    .sgpr_count:     33
    .sgpr_spill_count: 0
    .symbol:         _ZN9rocsparseL17csrilu0_binsearchILj256ELj32ELb0EfEEviPKiS2_PT2_S2_PiS2_S5_S5_d21rocsparse_index_base_imNS_24const_host_device_scalarIfEENS7_IdEENS7_IS3_EEb.kd
    .uniform_work_group_size: 1
    .uses_dynamic_stack: false
    .vgpr_count:     20
    .vgpr_spill_count: 0
    .wavefront_size: 32
  - .args:
      - .offset:         0
        .size:           4
        .value_kind:     by_value
      - .address_space:  global
        .offset:         8
        .size:           8
        .value_kind:     global_buffer
      - .address_space:  global
        .offset:         16
        .size:           8
        .value_kind:     global_buffer
      - .address_space:  global
        .offset:         24
        .size:           8
        .value_kind:     global_buffer
      - .address_space:  global
        .offset:         32
        .size:           8
        .value_kind:     global_buffer
      - .address_space:  global
        .offset:         40
        .size:           8
        .value_kind:     global_buffer
      - .address_space:  global
        .offset:         48
        .size:           8
        .value_kind:     global_buffer
      - .address_space:  global
        .offset:         56
        .size:           8
        .value_kind:     global_buffer
      - .address_space:  global
        .offset:         64
        .size:           8
        .value_kind:     global_buffer
      - .offset:         72
        .size:           8
        .value_kind:     by_value
      - .offset:         80
        .size:           4
        .value_kind:     by_value
      - .offset:         84
        .size:           4
        .value_kind:     by_value
      - .offset:         88
        .size:           8
        .value_kind:     by_value
      - .offset:         96
        .size:           8
        .value_kind:     by_value
      - .offset:         104
        .size:           8
        .value_kind:     by_value
      - .offset:         112
        .size:           8
        .value_kind:     by_value
      - .offset:         120
        .size:           1
        .value_kind:     by_value
    .group_segment_fixed_size: 2048
    .kernarg_segment_align: 8
    .kernarg_segment_size: 124
    .language:       OpenCL C
    .language_version:
      - 2
      - 0
    .max_flat_workgroup_size: 256
    .name:           _ZN9rocsparseL12csrilu0_hashILj256ELj64ELj1EfEEviPKiS2_PT2_S2_PiS2_S5_S5_d21rocsparse_index_base_imNS_24const_host_device_scalarIfEENS7_IdEENS7_IS3_EEb
    .private_segment_fixed_size: 0
    .sgpr_count:     44
    .sgpr_spill_count: 0
    .symbol:         _ZN9rocsparseL12csrilu0_hashILj256ELj64ELj1EfEEviPKiS2_PT2_S2_PiS2_S5_S5_d21rocsparse_index_base_imNS_24const_host_device_scalarIfEENS7_IdEENS7_IS3_EEb.kd
    .uniform_work_group_size: 1
    .uses_dynamic_stack: false
    .vgpr_count:     21
    .vgpr_spill_count: 0
    .wavefront_size: 32
  - .args:
      - .offset:         0
        .size:           4
        .value_kind:     by_value
      - .address_space:  global
        .offset:         8
        .size:           8
        .value_kind:     global_buffer
      - .address_space:  global
        .offset:         16
        .size:           8
        .value_kind:     global_buffer
      - .address_space:  global
        .offset:         24
        .size:           8
        .value_kind:     global_buffer
      - .address_space:  global
        .offset:         32
        .size:           8
        .value_kind:     global_buffer
      - .address_space:  global
        .offset:         40
        .size:           8
        .value_kind:     global_buffer
      - .address_space:  global
        .offset:         48
        .size:           8
        .value_kind:     global_buffer
      - .address_space:  global
        .offset:         56
        .size:           8
        .value_kind:     global_buffer
      - .address_space:  global
        .offset:         64
        .size:           8
        .value_kind:     global_buffer
      - .offset:         72
        .size:           8
        .value_kind:     by_value
      - .offset:         80
        .size:           4
        .value_kind:     by_value
      - .offset:         84
        .size:           4
        .value_kind:     by_value
      - .offset:         88
        .size:           8
        .value_kind:     by_value
      - .offset:         96
        .size:           8
        .value_kind:     by_value
      - .offset:         104
        .size:           8
        .value_kind:     by_value
      - .offset:         112
        .size:           8
        .value_kind:     by_value
      - .offset:         120
        .size:           1
        .value_kind:     by_value
    .group_segment_fixed_size: 4096
    .kernarg_segment_align: 8
    .kernarg_segment_size: 124
    .language:       OpenCL C
    .language_version:
      - 2
      - 0
    .max_flat_workgroup_size: 256
    .name:           _ZN9rocsparseL12csrilu0_hashILj256ELj64ELj2EfEEviPKiS2_PT2_S2_PiS2_S5_S5_d21rocsparse_index_base_imNS_24const_host_device_scalarIfEENS7_IdEENS7_IS3_EEb
    .private_segment_fixed_size: 0
    .sgpr_count:     44
    .sgpr_spill_count: 0
    .symbol:         _ZN9rocsparseL12csrilu0_hashILj256ELj64ELj2EfEEviPKiS2_PT2_S2_PiS2_S5_S5_d21rocsparse_index_base_imNS_24const_host_device_scalarIfEENS7_IdEENS7_IS3_EEb.kd
    .uniform_work_group_size: 1
    .uses_dynamic_stack: false
    .vgpr_count:     21
    .vgpr_spill_count: 0
    .wavefront_size: 32
  - .args:
      - .offset:         0
        .size:           4
        .value_kind:     by_value
      - .address_space:  global
        .offset:         8
        .size:           8
        .value_kind:     global_buffer
      - .address_space:  global
        .offset:         16
        .size:           8
        .value_kind:     global_buffer
      - .address_space:  global
        .offset:         24
        .size:           8
        .value_kind:     global_buffer
      - .address_space:  global
        .offset:         32
        .size:           8
        .value_kind:     global_buffer
      - .address_space:  global
        .offset:         40
        .size:           8
        .value_kind:     global_buffer
      - .address_space:  global
        .offset:         48
        .size:           8
        .value_kind:     global_buffer
      - .address_space:  global
        .offset:         56
        .size:           8
        .value_kind:     global_buffer
      - .address_space:  global
        .offset:         64
        .size:           8
        .value_kind:     global_buffer
      - .offset:         72
        .size:           8
        .value_kind:     by_value
      - .offset:         80
        .size:           4
        .value_kind:     by_value
      - .offset:         84
        .size:           4
        .value_kind:     by_value
      - .offset:         88
        .size:           8
        .value_kind:     by_value
      - .offset:         96
        .size:           8
        .value_kind:     by_value
      - .offset:         104
        .size:           8
        .value_kind:     by_value
      - .offset:         112
        .size:           8
        .value_kind:     by_value
      - .offset:         120
        .size:           1
        .value_kind:     by_value
    .group_segment_fixed_size: 8192
    .kernarg_segment_align: 8
    .kernarg_segment_size: 124
    .language:       OpenCL C
    .language_version:
      - 2
      - 0
    .max_flat_workgroup_size: 256
    .name:           _ZN9rocsparseL12csrilu0_hashILj256ELj64ELj4EfEEviPKiS2_PT2_S2_PiS2_S5_S5_d21rocsparse_index_base_imNS_24const_host_device_scalarIfEENS7_IdEENS7_IS3_EEb
    .private_segment_fixed_size: 0
    .sgpr_count:     44
    .sgpr_spill_count: 0
    .symbol:         _ZN9rocsparseL12csrilu0_hashILj256ELj64ELj4EfEEviPKiS2_PT2_S2_PiS2_S5_S5_d21rocsparse_index_base_imNS_24const_host_device_scalarIfEENS7_IdEENS7_IS3_EEb.kd
    .uniform_work_group_size: 1
    .uses_dynamic_stack: false
    .vgpr_count:     21
    .vgpr_spill_count: 0
    .wavefront_size: 32
  - .args:
      - .offset:         0
        .size:           4
        .value_kind:     by_value
      - .address_space:  global
        .offset:         8
        .size:           8
        .value_kind:     global_buffer
      - .address_space:  global
        .offset:         16
        .size:           8
        .value_kind:     global_buffer
      - .address_space:  global
        .offset:         24
        .size:           8
        .value_kind:     global_buffer
      - .address_space:  global
        .offset:         32
        .size:           8
        .value_kind:     global_buffer
      - .address_space:  global
        .offset:         40
        .size:           8
        .value_kind:     global_buffer
      - .address_space:  global
        .offset:         48
        .size:           8
        .value_kind:     global_buffer
      - .address_space:  global
        .offset:         56
        .size:           8
        .value_kind:     global_buffer
      - .address_space:  global
        .offset:         64
        .size:           8
        .value_kind:     global_buffer
      - .offset:         72
        .size:           8
        .value_kind:     by_value
      - .offset:         80
        .size:           4
        .value_kind:     by_value
      - .offset:         84
        .size:           4
        .value_kind:     by_value
      - .offset:         88
        .size:           8
        .value_kind:     by_value
      - .offset:         96
        .size:           8
        .value_kind:     by_value
      - .offset:         104
        .size:           8
        .value_kind:     by_value
      - .offset:         112
        .size:           8
        .value_kind:     by_value
      - .offset:         120
        .size:           1
        .value_kind:     by_value
    .group_segment_fixed_size: 16384
    .kernarg_segment_align: 8
    .kernarg_segment_size: 124
    .language:       OpenCL C
    .language_version:
      - 2
      - 0
    .max_flat_workgroup_size: 256
    .name:           _ZN9rocsparseL12csrilu0_hashILj256ELj64ELj8EfEEviPKiS2_PT2_S2_PiS2_S5_S5_d21rocsparse_index_base_imNS_24const_host_device_scalarIfEENS7_IdEENS7_IS3_EEb
    .private_segment_fixed_size: 0
    .sgpr_count:     44
    .sgpr_spill_count: 0
    .symbol:         _ZN9rocsparseL12csrilu0_hashILj256ELj64ELj8EfEEviPKiS2_PT2_S2_PiS2_S5_S5_d21rocsparse_index_base_imNS_24const_host_device_scalarIfEENS7_IdEENS7_IS3_EEb.kd
    .uniform_work_group_size: 1
    .uses_dynamic_stack: false
    .vgpr_count:     21
    .vgpr_spill_count: 0
    .wavefront_size: 32
  - .args:
      - .offset:         0
        .size:           4
        .value_kind:     by_value
      - .address_space:  global
        .offset:         8
        .size:           8
        .value_kind:     global_buffer
      - .address_space:  global
        .offset:         16
        .size:           8
        .value_kind:     global_buffer
      - .address_space:  global
        .offset:         24
        .size:           8
        .value_kind:     global_buffer
      - .address_space:  global
        .offset:         32
        .size:           8
        .value_kind:     global_buffer
      - .address_space:  global
        .offset:         40
        .size:           8
        .value_kind:     global_buffer
      - .address_space:  global
        .offset:         48
        .size:           8
        .value_kind:     global_buffer
      - .address_space:  global
        .offset:         56
        .size:           8
        .value_kind:     global_buffer
      - .address_space:  global
        .offset:         64
        .size:           8
        .value_kind:     global_buffer
      - .offset:         72
        .size:           8
        .value_kind:     by_value
      - .offset:         80
        .size:           4
        .value_kind:     by_value
      - .offset:         84
        .size:           4
        .value_kind:     by_value
      - .offset:         88
        .size:           8
        .value_kind:     by_value
      - .offset:         96
        .size:           8
        .value_kind:     by_value
      - .offset:         104
        .size:           8
        .value_kind:     by_value
      - .offset:         112
        .size:           8
        .value_kind:     by_value
      - .offset:         120
        .size:           1
        .value_kind:     by_value
    .group_segment_fixed_size: 32768
    .kernarg_segment_align: 8
    .kernarg_segment_size: 124
    .language:       OpenCL C
    .language_version:
      - 2
      - 0
    .max_flat_workgroup_size: 256
    .name:           _ZN9rocsparseL12csrilu0_hashILj256ELj64ELj16EfEEviPKiS2_PT2_S2_PiS2_S5_S5_d21rocsparse_index_base_imNS_24const_host_device_scalarIfEENS7_IdEENS7_IS3_EEb
    .private_segment_fixed_size: 0
    .sgpr_count:     44
    .sgpr_spill_count: 0
    .symbol:         _ZN9rocsparseL12csrilu0_hashILj256ELj64ELj16EfEEviPKiS2_PT2_S2_PiS2_S5_S5_d21rocsparse_index_base_imNS_24const_host_device_scalarIfEENS7_IdEENS7_IS3_EEb.kd
    .uniform_work_group_size: 1
    .uses_dynamic_stack: false
    .vgpr_count:     21
    .vgpr_spill_count: 0
    .wavefront_size: 32
  - .args:
      - .offset:         0
        .size:           4
        .value_kind:     by_value
      - .address_space:  global
        .offset:         8
        .size:           8
        .value_kind:     global_buffer
      - .address_space:  global
        .offset:         16
        .size:           8
        .value_kind:     global_buffer
      - .address_space:  global
        .offset:         24
        .size:           8
        .value_kind:     global_buffer
      - .address_space:  global
        .offset:         32
        .size:           8
        .value_kind:     global_buffer
      - .address_space:  global
        .offset:         40
        .size:           8
        .value_kind:     global_buffer
      - .address_space:  global
        .offset:         48
        .size:           8
        .value_kind:     global_buffer
      - .address_space:  global
        .offset:         56
        .size:           8
        .value_kind:     global_buffer
      - .address_space:  global
        .offset:         64
        .size:           8
        .value_kind:     global_buffer
      - .offset:         72
        .size:           8
        .value_kind:     by_value
      - .offset:         80
        .size:           4
        .value_kind:     by_value
      - .offset:         84
        .size:           4
        .value_kind:     by_value
      - .offset:         88
        .size:           8
        .value_kind:     by_value
      - .offset:         96
        .size:           8
        .value_kind:     by_value
      - .offset:         104
        .size:           8
        .value_kind:     by_value
      - .offset:         112
        .size:           8
        .value_kind:     by_value
      - .offset:         120
        .size:           1
        .value_kind:     by_value
    .group_segment_fixed_size: 0
    .kernarg_segment_align: 8
    .kernarg_segment_size: 124
    .language:       OpenCL C
    .language_version:
      - 2
      - 0
    .max_flat_workgroup_size: 256
    .name:           _ZN9rocsparseL17csrilu0_binsearchILj256ELj64ELb0EfEEviPKiS2_PT2_S2_PiS2_S5_S5_d21rocsparse_index_base_imNS_24const_host_device_scalarIfEENS7_IdEENS7_IS3_EEb
    .private_segment_fixed_size: 0
    .sgpr_count:     33
    .sgpr_spill_count: 0
    .symbol:         _ZN9rocsparseL17csrilu0_binsearchILj256ELj64ELb0EfEEviPKiS2_PT2_S2_PiS2_S5_S5_d21rocsparse_index_base_imNS_24const_host_device_scalarIfEENS7_IdEENS7_IS3_EEb.kd
    .uniform_work_group_size: 1
    .uses_dynamic_stack: false
    .vgpr_count:     20
    .vgpr_spill_count: 0
    .wavefront_size: 32
  - .args:
      - .offset:         0
        .size:           4
        .value_kind:     by_value
      - .address_space:  global
        .offset:         8
        .size:           8
        .value_kind:     global_buffer
      - .address_space:  global
        .offset:         16
        .size:           8
        .value_kind:     global_buffer
      - .address_space:  global
        .offset:         24
        .size:           8
        .value_kind:     global_buffer
      - .address_space:  global
        .offset:         32
        .size:           8
        .value_kind:     global_buffer
      - .address_space:  global
        .offset:         40
        .size:           8
        .value_kind:     global_buffer
      - .address_space:  global
        .offset:         48
        .size:           8
        .value_kind:     global_buffer
      - .address_space:  global
        .offset:         56
        .size:           8
        .value_kind:     global_buffer
      - .address_space:  global
        .offset:         64
        .size:           8
        .value_kind:     global_buffer
      - .offset:         72
        .size:           8
        .value_kind:     by_value
      - .offset:         80
        .size:           4
        .value_kind:     by_value
      - .offset:         84
        .size:           4
        .value_kind:     by_value
      - .offset:         88
        .size:           8
        .value_kind:     by_value
      - .offset:         96
        .size:           8
        .value_kind:     by_value
      - .offset:         104
        .size:           8
        .value_kind:     by_value
      - .offset:         112
        .size:           8
        .value_kind:     by_value
      - .offset:         120
        .size:           1
        .value_kind:     by_value
    .group_segment_fixed_size: 0
    .kernarg_segment_align: 8
    .kernarg_segment_size: 124
    .language:       OpenCL C
    .language_version:
      - 2
      - 0
    .max_flat_workgroup_size: 256
    .name:           _ZN9rocsparseL17csrilu0_binsearchILj256ELj64ELb1EdEEviPKiS2_PT2_S2_PiS2_S5_S5_d21rocsparse_index_base_imNS_24const_host_device_scalarIfEENS7_IdEENS7_IS3_EEb
    .private_segment_fixed_size: 0
    .sgpr_count:     33
    .sgpr_spill_count: 0
    .symbol:         _ZN9rocsparseL17csrilu0_binsearchILj256ELj64ELb1EdEEviPKiS2_PT2_S2_PiS2_S5_S5_d21rocsparse_index_base_imNS_24const_host_device_scalarIfEENS7_IdEENS7_IS3_EEb.kd
    .uniform_work_group_size: 1
    .uses_dynamic_stack: false
    .vgpr_count:     28
    .vgpr_spill_count: 0
    .wavefront_size: 32
  - .args:
      - .offset:         0
        .size:           4
        .value_kind:     by_value
      - .address_space:  global
        .offset:         8
        .size:           8
        .value_kind:     global_buffer
      - .address_space:  global
        .offset:         16
        .size:           8
        .value_kind:     global_buffer
      - .address_space:  global
        .offset:         24
        .size:           8
        .value_kind:     global_buffer
      - .address_space:  global
        .offset:         32
        .size:           8
        .value_kind:     global_buffer
      - .address_space:  global
        .offset:         40
        .size:           8
        .value_kind:     global_buffer
      - .address_space:  global
        .offset:         48
        .size:           8
        .value_kind:     global_buffer
      - .address_space:  global
        .offset:         56
        .size:           8
        .value_kind:     global_buffer
      - .address_space:  global
        .offset:         64
        .size:           8
        .value_kind:     global_buffer
      - .offset:         72
        .size:           8
        .value_kind:     by_value
      - .offset:         80
        .size:           4
        .value_kind:     by_value
      - .offset:         84
        .size:           4
        .value_kind:     by_value
      - .offset:         88
        .size:           8
        .value_kind:     by_value
      - .offset:         96
        .size:           8
        .value_kind:     by_value
      - .offset:         104
        .size:           8
        .value_kind:     by_value
      - .offset:         112
        .size:           8
        .value_kind:     by_value
      - .offset:         120
        .size:           1
        .value_kind:     by_value
    .group_segment_fixed_size: 2048
    .kernarg_segment_align: 8
    .kernarg_segment_size: 124
    .language:       OpenCL C
    .language_version:
      - 2
      - 0
    .max_flat_workgroup_size: 256
    .name:           _ZN9rocsparseL12csrilu0_hashILj256ELj32ELj1EdEEviPKiS2_PT2_S2_PiS2_S5_S5_d21rocsparse_index_base_imNS_24const_host_device_scalarIfEENS7_IdEENS7_IS3_EEb
    .private_segment_fixed_size: 0
    .sgpr_count:     43
    .sgpr_spill_count: 0
    .symbol:         _ZN9rocsparseL12csrilu0_hashILj256ELj32ELj1EdEEviPKiS2_PT2_S2_PiS2_S5_S5_d21rocsparse_index_base_imNS_24const_host_device_scalarIfEENS7_IdEENS7_IS3_EEb.kd
    .uniform_work_group_size: 1
    .uses_dynamic_stack: false
    .vgpr_count:     28
    .vgpr_spill_count: 0
    .wavefront_size: 32
  - .args:
      - .offset:         0
        .size:           4
        .value_kind:     by_value
      - .address_space:  global
        .offset:         8
        .size:           8
        .value_kind:     global_buffer
      - .address_space:  global
        .offset:         16
        .size:           8
        .value_kind:     global_buffer
      - .address_space:  global
        .offset:         24
        .size:           8
        .value_kind:     global_buffer
      - .address_space:  global
        .offset:         32
        .size:           8
        .value_kind:     global_buffer
      - .address_space:  global
        .offset:         40
        .size:           8
        .value_kind:     global_buffer
      - .address_space:  global
        .offset:         48
        .size:           8
        .value_kind:     global_buffer
      - .address_space:  global
        .offset:         56
        .size:           8
        .value_kind:     global_buffer
      - .address_space:  global
        .offset:         64
        .size:           8
        .value_kind:     global_buffer
      - .offset:         72
        .size:           8
        .value_kind:     by_value
      - .offset:         80
        .size:           4
        .value_kind:     by_value
      - .offset:         84
        .size:           4
        .value_kind:     by_value
      - .offset:         88
        .size:           8
        .value_kind:     by_value
      - .offset:         96
        .size:           8
        .value_kind:     by_value
      - .offset:         104
        .size:           8
        .value_kind:     by_value
      - .offset:         112
        .size:           8
        .value_kind:     by_value
      - .offset:         120
        .size:           1
        .value_kind:     by_value
    .group_segment_fixed_size: 4096
    .kernarg_segment_align: 8
    .kernarg_segment_size: 124
    .language:       OpenCL C
    .language_version:
      - 2
      - 0
    .max_flat_workgroup_size: 256
    .name:           _ZN9rocsparseL12csrilu0_hashILj256ELj32ELj2EdEEviPKiS2_PT2_S2_PiS2_S5_S5_d21rocsparse_index_base_imNS_24const_host_device_scalarIfEENS7_IdEENS7_IS3_EEb
    .private_segment_fixed_size: 0
    .sgpr_count:     43
    .sgpr_spill_count: 0
    .symbol:         _ZN9rocsparseL12csrilu0_hashILj256ELj32ELj2EdEEviPKiS2_PT2_S2_PiS2_S5_S5_d21rocsparse_index_base_imNS_24const_host_device_scalarIfEENS7_IdEENS7_IS3_EEb.kd
    .uniform_work_group_size: 1
    .uses_dynamic_stack: false
    .vgpr_count:     28
    .vgpr_spill_count: 0
    .wavefront_size: 32
  - .args:
      - .offset:         0
        .size:           4
        .value_kind:     by_value
      - .address_space:  global
        .offset:         8
        .size:           8
        .value_kind:     global_buffer
      - .address_space:  global
        .offset:         16
        .size:           8
        .value_kind:     global_buffer
      - .address_space:  global
        .offset:         24
        .size:           8
        .value_kind:     global_buffer
      - .address_space:  global
        .offset:         32
        .size:           8
        .value_kind:     global_buffer
      - .address_space:  global
        .offset:         40
        .size:           8
        .value_kind:     global_buffer
      - .address_space:  global
        .offset:         48
        .size:           8
        .value_kind:     global_buffer
      - .address_space:  global
        .offset:         56
        .size:           8
        .value_kind:     global_buffer
      - .address_space:  global
        .offset:         64
        .size:           8
        .value_kind:     global_buffer
      - .offset:         72
        .size:           8
        .value_kind:     by_value
      - .offset:         80
        .size:           4
        .value_kind:     by_value
      - .offset:         84
        .size:           4
        .value_kind:     by_value
      - .offset:         88
        .size:           8
        .value_kind:     by_value
      - .offset:         96
        .size:           8
        .value_kind:     by_value
      - .offset:         104
        .size:           8
        .value_kind:     by_value
      - .offset:         112
        .size:           8
        .value_kind:     by_value
      - .offset:         120
        .size:           1
        .value_kind:     by_value
    .group_segment_fixed_size: 8192
    .kernarg_segment_align: 8
    .kernarg_segment_size: 124
    .language:       OpenCL C
    .language_version:
      - 2
      - 0
    .max_flat_workgroup_size: 256
    .name:           _ZN9rocsparseL12csrilu0_hashILj256ELj32ELj4EdEEviPKiS2_PT2_S2_PiS2_S5_S5_d21rocsparse_index_base_imNS_24const_host_device_scalarIfEENS7_IdEENS7_IS3_EEb
    .private_segment_fixed_size: 0
    .sgpr_count:     43
    .sgpr_spill_count: 0
    .symbol:         _ZN9rocsparseL12csrilu0_hashILj256ELj32ELj4EdEEviPKiS2_PT2_S2_PiS2_S5_S5_d21rocsparse_index_base_imNS_24const_host_device_scalarIfEENS7_IdEENS7_IS3_EEb.kd
    .uniform_work_group_size: 1
    .uses_dynamic_stack: false
    .vgpr_count:     28
    .vgpr_spill_count: 0
    .wavefront_size: 32
  - .args:
      - .offset:         0
        .size:           4
        .value_kind:     by_value
      - .address_space:  global
        .offset:         8
        .size:           8
        .value_kind:     global_buffer
      - .address_space:  global
        .offset:         16
        .size:           8
        .value_kind:     global_buffer
      - .address_space:  global
        .offset:         24
        .size:           8
        .value_kind:     global_buffer
      - .address_space:  global
        .offset:         32
        .size:           8
        .value_kind:     global_buffer
      - .address_space:  global
        .offset:         40
        .size:           8
        .value_kind:     global_buffer
      - .address_space:  global
        .offset:         48
        .size:           8
        .value_kind:     global_buffer
      - .address_space:  global
        .offset:         56
        .size:           8
        .value_kind:     global_buffer
      - .address_space:  global
        .offset:         64
        .size:           8
        .value_kind:     global_buffer
      - .offset:         72
        .size:           8
        .value_kind:     by_value
      - .offset:         80
        .size:           4
        .value_kind:     by_value
      - .offset:         84
        .size:           4
        .value_kind:     by_value
      - .offset:         88
        .size:           8
        .value_kind:     by_value
      - .offset:         96
        .size:           8
        .value_kind:     by_value
      - .offset:         104
        .size:           8
        .value_kind:     by_value
      - .offset:         112
        .size:           8
        .value_kind:     by_value
      - .offset:         120
        .size:           1
        .value_kind:     by_value
    .group_segment_fixed_size: 16384
    .kernarg_segment_align: 8
    .kernarg_segment_size: 124
    .language:       OpenCL C
    .language_version:
      - 2
      - 0
    .max_flat_workgroup_size: 256
    .name:           _ZN9rocsparseL12csrilu0_hashILj256ELj32ELj8EdEEviPKiS2_PT2_S2_PiS2_S5_S5_d21rocsparse_index_base_imNS_24const_host_device_scalarIfEENS7_IdEENS7_IS3_EEb
    .private_segment_fixed_size: 0
    .sgpr_count:     43
    .sgpr_spill_count: 0
    .symbol:         _ZN9rocsparseL12csrilu0_hashILj256ELj32ELj8EdEEviPKiS2_PT2_S2_PiS2_S5_S5_d21rocsparse_index_base_imNS_24const_host_device_scalarIfEENS7_IdEENS7_IS3_EEb.kd
    .uniform_work_group_size: 1
    .uses_dynamic_stack: false
    .vgpr_count:     28
    .vgpr_spill_count: 0
    .wavefront_size: 32
  - .args:
      - .offset:         0
        .size:           4
        .value_kind:     by_value
      - .address_space:  global
        .offset:         8
        .size:           8
        .value_kind:     global_buffer
      - .address_space:  global
        .offset:         16
        .size:           8
        .value_kind:     global_buffer
      - .address_space:  global
        .offset:         24
        .size:           8
        .value_kind:     global_buffer
      - .address_space:  global
        .offset:         32
        .size:           8
        .value_kind:     global_buffer
      - .address_space:  global
        .offset:         40
        .size:           8
        .value_kind:     global_buffer
      - .address_space:  global
        .offset:         48
        .size:           8
        .value_kind:     global_buffer
      - .address_space:  global
        .offset:         56
        .size:           8
        .value_kind:     global_buffer
      - .address_space:  global
        .offset:         64
        .size:           8
        .value_kind:     global_buffer
      - .offset:         72
        .size:           8
        .value_kind:     by_value
      - .offset:         80
        .size:           4
        .value_kind:     by_value
      - .offset:         84
        .size:           4
        .value_kind:     by_value
      - .offset:         88
        .size:           8
        .value_kind:     by_value
      - .offset:         96
        .size:           8
        .value_kind:     by_value
      - .offset:         104
        .size:           8
        .value_kind:     by_value
      - .offset:         112
        .size:           8
        .value_kind:     by_value
      - .offset:         120
        .size:           1
        .value_kind:     by_value
    .group_segment_fixed_size: 32768
    .kernarg_segment_align: 8
    .kernarg_segment_size: 124
    .language:       OpenCL C
    .language_version:
      - 2
      - 0
    .max_flat_workgroup_size: 256
    .name:           _ZN9rocsparseL12csrilu0_hashILj256ELj32ELj16EdEEviPKiS2_PT2_S2_PiS2_S5_S5_d21rocsparse_index_base_imNS_24const_host_device_scalarIfEENS7_IdEENS7_IS3_EEb
    .private_segment_fixed_size: 0
    .sgpr_count:     43
    .sgpr_spill_count: 0
    .symbol:         _ZN9rocsparseL12csrilu0_hashILj256ELj32ELj16EdEEviPKiS2_PT2_S2_PiS2_S5_S5_d21rocsparse_index_base_imNS_24const_host_device_scalarIfEENS7_IdEENS7_IS3_EEb.kd
    .uniform_work_group_size: 1
    .uses_dynamic_stack: false
    .vgpr_count:     28
    .vgpr_spill_count: 0
    .wavefront_size: 32
  - .args:
      - .offset:         0
        .size:           4
        .value_kind:     by_value
      - .address_space:  global
        .offset:         8
        .size:           8
        .value_kind:     global_buffer
      - .address_space:  global
        .offset:         16
        .size:           8
        .value_kind:     global_buffer
      - .address_space:  global
        .offset:         24
        .size:           8
        .value_kind:     global_buffer
      - .address_space:  global
        .offset:         32
        .size:           8
        .value_kind:     global_buffer
      - .address_space:  global
        .offset:         40
        .size:           8
        .value_kind:     global_buffer
      - .address_space:  global
        .offset:         48
        .size:           8
        .value_kind:     global_buffer
      - .address_space:  global
        .offset:         56
        .size:           8
        .value_kind:     global_buffer
      - .address_space:  global
        .offset:         64
        .size:           8
        .value_kind:     global_buffer
      - .offset:         72
        .size:           8
        .value_kind:     by_value
      - .offset:         80
        .size:           4
        .value_kind:     by_value
      - .offset:         84
        .size:           4
        .value_kind:     by_value
      - .offset:         88
        .size:           8
        .value_kind:     by_value
      - .offset:         96
        .size:           8
        .value_kind:     by_value
      - .offset:         104
        .size:           8
        .value_kind:     by_value
      - .offset:         112
        .size:           8
        .value_kind:     by_value
      - .offset:         120
        .size:           1
        .value_kind:     by_value
    .group_segment_fixed_size: 0
    .kernarg_segment_align: 8
    .kernarg_segment_size: 124
    .language:       OpenCL C
    .language_version:
      - 2
      - 0
    .max_flat_workgroup_size: 256
    .name:           _ZN9rocsparseL17csrilu0_binsearchILj256ELj32ELb0EdEEviPKiS2_PT2_S2_PiS2_S5_S5_d21rocsparse_index_base_imNS_24const_host_device_scalarIfEENS7_IdEENS7_IS3_EEb
    .private_segment_fixed_size: 0
    .sgpr_count:     33
    .sgpr_spill_count: 0
    .symbol:         _ZN9rocsparseL17csrilu0_binsearchILj256ELj32ELb0EdEEviPKiS2_PT2_S2_PiS2_S5_S5_d21rocsparse_index_base_imNS_24const_host_device_scalarIfEENS7_IdEENS7_IS3_EEb.kd
    .uniform_work_group_size: 1
    .uses_dynamic_stack: false
    .vgpr_count:     28
    .vgpr_spill_count: 0
    .wavefront_size: 32
  - .args:
      - .offset:         0
        .size:           4
        .value_kind:     by_value
      - .address_space:  global
        .offset:         8
        .size:           8
        .value_kind:     global_buffer
      - .address_space:  global
        .offset:         16
        .size:           8
        .value_kind:     global_buffer
      - .address_space:  global
        .offset:         24
        .size:           8
        .value_kind:     global_buffer
      - .address_space:  global
        .offset:         32
        .size:           8
        .value_kind:     global_buffer
      - .address_space:  global
        .offset:         40
        .size:           8
        .value_kind:     global_buffer
      - .address_space:  global
        .offset:         48
        .size:           8
        .value_kind:     global_buffer
      - .address_space:  global
        .offset:         56
        .size:           8
        .value_kind:     global_buffer
      - .address_space:  global
        .offset:         64
        .size:           8
        .value_kind:     global_buffer
      - .offset:         72
        .size:           8
        .value_kind:     by_value
      - .offset:         80
        .size:           4
        .value_kind:     by_value
      - .offset:         84
        .size:           4
        .value_kind:     by_value
      - .offset:         88
        .size:           8
        .value_kind:     by_value
      - .offset:         96
        .size:           8
        .value_kind:     by_value
      - .offset:         104
        .size:           8
        .value_kind:     by_value
      - .offset:         112
        .size:           8
        .value_kind:     by_value
      - .offset:         120
        .size:           1
        .value_kind:     by_value
    .group_segment_fixed_size: 2048
    .kernarg_segment_align: 8
    .kernarg_segment_size: 124
    .language:       OpenCL C
    .language_version:
      - 2
      - 0
    .max_flat_workgroup_size: 256
    .name:           _ZN9rocsparseL12csrilu0_hashILj256ELj64ELj1EdEEviPKiS2_PT2_S2_PiS2_S5_S5_d21rocsparse_index_base_imNS_24const_host_device_scalarIfEENS7_IdEENS7_IS3_EEb
    .private_segment_fixed_size: 0
    .sgpr_count:     43
    .sgpr_spill_count: 0
    .symbol:         _ZN9rocsparseL12csrilu0_hashILj256ELj64ELj1EdEEviPKiS2_PT2_S2_PiS2_S5_S5_d21rocsparse_index_base_imNS_24const_host_device_scalarIfEENS7_IdEENS7_IS3_EEb.kd
    .uniform_work_group_size: 1
    .uses_dynamic_stack: false
    .vgpr_count:     28
    .vgpr_spill_count: 0
    .wavefront_size: 32
  - .args:
      - .offset:         0
        .size:           4
        .value_kind:     by_value
      - .address_space:  global
        .offset:         8
        .size:           8
        .value_kind:     global_buffer
      - .address_space:  global
        .offset:         16
        .size:           8
        .value_kind:     global_buffer
      - .address_space:  global
        .offset:         24
        .size:           8
        .value_kind:     global_buffer
      - .address_space:  global
        .offset:         32
        .size:           8
        .value_kind:     global_buffer
      - .address_space:  global
        .offset:         40
        .size:           8
        .value_kind:     global_buffer
      - .address_space:  global
        .offset:         48
        .size:           8
        .value_kind:     global_buffer
      - .address_space:  global
        .offset:         56
        .size:           8
        .value_kind:     global_buffer
      - .address_space:  global
        .offset:         64
        .size:           8
        .value_kind:     global_buffer
      - .offset:         72
        .size:           8
        .value_kind:     by_value
      - .offset:         80
        .size:           4
        .value_kind:     by_value
      - .offset:         84
        .size:           4
        .value_kind:     by_value
      - .offset:         88
        .size:           8
        .value_kind:     by_value
      - .offset:         96
        .size:           8
        .value_kind:     by_value
      - .offset:         104
        .size:           8
        .value_kind:     by_value
      - .offset:         112
        .size:           8
        .value_kind:     by_value
      - .offset:         120
        .size:           1
        .value_kind:     by_value
    .group_segment_fixed_size: 4096
    .kernarg_segment_align: 8
    .kernarg_segment_size: 124
    .language:       OpenCL C
    .language_version:
      - 2
      - 0
    .max_flat_workgroup_size: 256
    .name:           _ZN9rocsparseL12csrilu0_hashILj256ELj64ELj2EdEEviPKiS2_PT2_S2_PiS2_S5_S5_d21rocsparse_index_base_imNS_24const_host_device_scalarIfEENS7_IdEENS7_IS3_EEb
    .private_segment_fixed_size: 0
    .sgpr_count:     43
    .sgpr_spill_count: 0
    .symbol:         _ZN9rocsparseL12csrilu0_hashILj256ELj64ELj2EdEEviPKiS2_PT2_S2_PiS2_S5_S5_d21rocsparse_index_base_imNS_24const_host_device_scalarIfEENS7_IdEENS7_IS3_EEb.kd
    .uniform_work_group_size: 1
    .uses_dynamic_stack: false
    .vgpr_count:     28
    .vgpr_spill_count: 0
    .wavefront_size: 32
  - .args:
      - .offset:         0
        .size:           4
        .value_kind:     by_value
      - .address_space:  global
        .offset:         8
        .size:           8
        .value_kind:     global_buffer
      - .address_space:  global
        .offset:         16
        .size:           8
        .value_kind:     global_buffer
      - .address_space:  global
        .offset:         24
        .size:           8
        .value_kind:     global_buffer
      - .address_space:  global
        .offset:         32
        .size:           8
        .value_kind:     global_buffer
      - .address_space:  global
        .offset:         40
        .size:           8
        .value_kind:     global_buffer
      - .address_space:  global
        .offset:         48
        .size:           8
        .value_kind:     global_buffer
      - .address_space:  global
        .offset:         56
        .size:           8
        .value_kind:     global_buffer
      - .address_space:  global
        .offset:         64
        .size:           8
        .value_kind:     global_buffer
      - .offset:         72
        .size:           8
        .value_kind:     by_value
      - .offset:         80
        .size:           4
        .value_kind:     by_value
      - .offset:         84
        .size:           4
        .value_kind:     by_value
      - .offset:         88
        .size:           8
        .value_kind:     by_value
      - .offset:         96
        .size:           8
        .value_kind:     by_value
      - .offset:         104
        .size:           8
        .value_kind:     by_value
      - .offset:         112
        .size:           8
        .value_kind:     by_value
      - .offset:         120
        .size:           1
        .value_kind:     by_value
    .group_segment_fixed_size: 8192
    .kernarg_segment_align: 8
    .kernarg_segment_size: 124
    .language:       OpenCL C
    .language_version:
      - 2
      - 0
    .max_flat_workgroup_size: 256
    .name:           _ZN9rocsparseL12csrilu0_hashILj256ELj64ELj4EdEEviPKiS2_PT2_S2_PiS2_S5_S5_d21rocsparse_index_base_imNS_24const_host_device_scalarIfEENS7_IdEENS7_IS3_EEb
    .private_segment_fixed_size: 0
    .sgpr_count:     43
    .sgpr_spill_count: 0
    .symbol:         _ZN9rocsparseL12csrilu0_hashILj256ELj64ELj4EdEEviPKiS2_PT2_S2_PiS2_S5_S5_d21rocsparse_index_base_imNS_24const_host_device_scalarIfEENS7_IdEENS7_IS3_EEb.kd
    .uniform_work_group_size: 1
    .uses_dynamic_stack: false
    .vgpr_count:     28
    .vgpr_spill_count: 0
    .wavefront_size: 32
  - .args:
      - .offset:         0
        .size:           4
        .value_kind:     by_value
      - .address_space:  global
        .offset:         8
        .size:           8
        .value_kind:     global_buffer
      - .address_space:  global
        .offset:         16
        .size:           8
        .value_kind:     global_buffer
      - .address_space:  global
        .offset:         24
        .size:           8
        .value_kind:     global_buffer
      - .address_space:  global
        .offset:         32
        .size:           8
        .value_kind:     global_buffer
      - .address_space:  global
        .offset:         40
        .size:           8
        .value_kind:     global_buffer
      - .address_space:  global
        .offset:         48
        .size:           8
        .value_kind:     global_buffer
      - .address_space:  global
        .offset:         56
        .size:           8
        .value_kind:     global_buffer
      - .address_space:  global
        .offset:         64
        .size:           8
        .value_kind:     global_buffer
      - .offset:         72
        .size:           8
        .value_kind:     by_value
      - .offset:         80
        .size:           4
        .value_kind:     by_value
      - .offset:         84
        .size:           4
        .value_kind:     by_value
      - .offset:         88
        .size:           8
        .value_kind:     by_value
      - .offset:         96
        .size:           8
        .value_kind:     by_value
      - .offset:         104
        .size:           8
        .value_kind:     by_value
      - .offset:         112
        .size:           8
        .value_kind:     by_value
      - .offset:         120
        .size:           1
        .value_kind:     by_value
    .group_segment_fixed_size: 16384
    .kernarg_segment_align: 8
    .kernarg_segment_size: 124
    .language:       OpenCL C
    .language_version:
      - 2
      - 0
    .max_flat_workgroup_size: 256
    .name:           _ZN9rocsparseL12csrilu0_hashILj256ELj64ELj8EdEEviPKiS2_PT2_S2_PiS2_S5_S5_d21rocsparse_index_base_imNS_24const_host_device_scalarIfEENS7_IdEENS7_IS3_EEb
    .private_segment_fixed_size: 0
    .sgpr_count:     43
    .sgpr_spill_count: 0
    .symbol:         _ZN9rocsparseL12csrilu0_hashILj256ELj64ELj8EdEEviPKiS2_PT2_S2_PiS2_S5_S5_d21rocsparse_index_base_imNS_24const_host_device_scalarIfEENS7_IdEENS7_IS3_EEb.kd
    .uniform_work_group_size: 1
    .uses_dynamic_stack: false
    .vgpr_count:     28
    .vgpr_spill_count: 0
    .wavefront_size: 32
  - .args:
      - .offset:         0
        .size:           4
        .value_kind:     by_value
      - .address_space:  global
        .offset:         8
        .size:           8
        .value_kind:     global_buffer
      - .address_space:  global
        .offset:         16
        .size:           8
        .value_kind:     global_buffer
      - .address_space:  global
        .offset:         24
        .size:           8
        .value_kind:     global_buffer
      - .address_space:  global
        .offset:         32
        .size:           8
        .value_kind:     global_buffer
      - .address_space:  global
        .offset:         40
        .size:           8
        .value_kind:     global_buffer
      - .address_space:  global
        .offset:         48
        .size:           8
        .value_kind:     global_buffer
      - .address_space:  global
        .offset:         56
        .size:           8
        .value_kind:     global_buffer
      - .address_space:  global
        .offset:         64
        .size:           8
        .value_kind:     global_buffer
      - .offset:         72
        .size:           8
        .value_kind:     by_value
      - .offset:         80
        .size:           4
        .value_kind:     by_value
      - .offset:         84
        .size:           4
        .value_kind:     by_value
      - .offset:         88
        .size:           8
        .value_kind:     by_value
      - .offset:         96
        .size:           8
        .value_kind:     by_value
      - .offset:         104
        .size:           8
        .value_kind:     by_value
      - .offset:         112
        .size:           8
        .value_kind:     by_value
      - .offset:         120
        .size:           1
        .value_kind:     by_value
    .group_segment_fixed_size: 32768
    .kernarg_segment_align: 8
    .kernarg_segment_size: 124
    .language:       OpenCL C
    .language_version:
      - 2
      - 0
    .max_flat_workgroup_size: 256
    .name:           _ZN9rocsparseL12csrilu0_hashILj256ELj64ELj16EdEEviPKiS2_PT2_S2_PiS2_S5_S5_d21rocsparse_index_base_imNS_24const_host_device_scalarIfEENS7_IdEENS7_IS3_EEb
    .private_segment_fixed_size: 0
    .sgpr_count:     43
    .sgpr_spill_count: 0
    .symbol:         _ZN9rocsparseL12csrilu0_hashILj256ELj64ELj16EdEEviPKiS2_PT2_S2_PiS2_S5_S5_d21rocsparse_index_base_imNS_24const_host_device_scalarIfEENS7_IdEENS7_IS3_EEb.kd
    .uniform_work_group_size: 1
    .uses_dynamic_stack: false
    .vgpr_count:     28
    .vgpr_spill_count: 0
    .wavefront_size: 32
  - .args:
      - .offset:         0
        .size:           4
        .value_kind:     by_value
      - .address_space:  global
        .offset:         8
        .size:           8
        .value_kind:     global_buffer
      - .address_space:  global
        .offset:         16
        .size:           8
        .value_kind:     global_buffer
      - .address_space:  global
        .offset:         24
        .size:           8
        .value_kind:     global_buffer
      - .address_space:  global
        .offset:         32
        .size:           8
        .value_kind:     global_buffer
      - .address_space:  global
        .offset:         40
        .size:           8
        .value_kind:     global_buffer
      - .address_space:  global
        .offset:         48
        .size:           8
        .value_kind:     global_buffer
      - .address_space:  global
        .offset:         56
        .size:           8
        .value_kind:     global_buffer
      - .address_space:  global
        .offset:         64
        .size:           8
        .value_kind:     global_buffer
      - .offset:         72
        .size:           8
        .value_kind:     by_value
      - .offset:         80
        .size:           4
        .value_kind:     by_value
      - .offset:         84
        .size:           4
        .value_kind:     by_value
      - .offset:         88
        .size:           8
        .value_kind:     by_value
      - .offset:         96
        .size:           8
        .value_kind:     by_value
      - .offset:         104
        .size:           8
        .value_kind:     by_value
      - .offset:         112
        .size:           8
        .value_kind:     by_value
      - .offset:         120
        .size:           1
        .value_kind:     by_value
    .group_segment_fixed_size: 0
    .kernarg_segment_align: 8
    .kernarg_segment_size: 124
    .language:       OpenCL C
    .language_version:
      - 2
      - 0
    .max_flat_workgroup_size: 256
    .name:           _ZN9rocsparseL17csrilu0_binsearchILj256ELj64ELb0EdEEviPKiS2_PT2_S2_PiS2_S5_S5_d21rocsparse_index_base_imNS_24const_host_device_scalarIfEENS7_IdEENS7_IS3_EEb
    .private_segment_fixed_size: 0
    .sgpr_count:     33
    .sgpr_spill_count: 0
    .symbol:         _ZN9rocsparseL17csrilu0_binsearchILj256ELj64ELb0EdEEviPKiS2_PT2_S2_PiS2_S5_S5_d21rocsparse_index_base_imNS_24const_host_device_scalarIfEENS7_IdEENS7_IS3_EEb.kd
    .uniform_work_group_size: 1
    .uses_dynamic_stack: false
    .vgpr_count:     28
    .vgpr_spill_count: 0
    .wavefront_size: 32
  - .args:
      - .offset:         0
        .size:           4
        .value_kind:     by_value
      - .address_space:  global
        .offset:         8
        .size:           8
        .value_kind:     global_buffer
      - .address_space:  global
        .offset:         16
        .size:           8
        .value_kind:     global_buffer
      - .address_space:  global
        .offset:         24
        .size:           8
        .value_kind:     global_buffer
      - .address_space:  global
        .offset:         32
        .size:           8
        .value_kind:     global_buffer
      - .address_space:  global
        .offset:         40
        .size:           8
        .value_kind:     global_buffer
      - .address_space:  global
        .offset:         48
        .size:           8
        .value_kind:     global_buffer
      - .address_space:  global
        .offset:         56
        .size:           8
        .value_kind:     global_buffer
      - .address_space:  global
        .offset:         64
        .size:           8
        .value_kind:     global_buffer
      - .offset:         72
        .size:           8
        .value_kind:     by_value
      - .offset:         80
        .size:           4
        .value_kind:     by_value
      - .offset:         84
        .size:           4
        .value_kind:     by_value
      - .offset:         88
        .size:           8
        .value_kind:     by_value
      - .offset:         96
        .size:           8
        .value_kind:     by_value
      - .offset:         104
        .size:           8
        .value_kind:     by_value
      - .offset:         112
        .size:           8
        .value_kind:     by_value
      - .offset:         120
        .size:           1
        .value_kind:     by_value
    .group_segment_fixed_size: 0
    .kernarg_segment_align: 8
    .kernarg_segment_size: 124
    .language:       OpenCL C
    .language_version:
      - 2
      - 0
    .max_flat_workgroup_size: 256
    .name:           _ZN9rocsparseL17csrilu0_binsearchILj256ELj64ELb1E21rocsparse_complex_numIfEEEviPKiS4_PT2_S4_PiS4_S7_S7_d21rocsparse_index_base_imNS_24const_host_device_scalarIfEENS9_IdEENS9_IS5_EEb
    .private_segment_fixed_size: 0
    .sgpr_count:     32
    .sgpr_spill_count: 0
    .symbol:         _ZN9rocsparseL17csrilu0_binsearchILj256ELj64ELb1E21rocsparse_complex_numIfEEEviPKiS4_PT2_S4_PiS4_S7_S7_d21rocsparse_index_base_imNS_24const_host_device_scalarIfEENS9_IdEENS9_IS5_EEb.kd
    .uniform_work_group_size: 1
    .uses_dynamic_stack: false
    .vgpr_count:     24
    .vgpr_spill_count: 0
    .wavefront_size: 32
  - .args:
      - .offset:         0
        .size:           4
        .value_kind:     by_value
      - .address_space:  global
        .offset:         8
        .size:           8
        .value_kind:     global_buffer
      - .address_space:  global
        .offset:         16
        .size:           8
        .value_kind:     global_buffer
      - .address_space:  global
        .offset:         24
        .size:           8
        .value_kind:     global_buffer
      - .address_space:  global
        .offset:         32
        .size:           8
        .value_kind:     global_buffer
      - .address_space:  global
        .offset:         40
        .size:           8
        .value_kind:     global_buffer
      - .address_space:  global
        .offset:         48
        .size:           8
        .value_kind:     global_buffer
      - .address_space:  global
        .offset:         56
        .size:           8
        .value_kind:     global_buffer
      - .address_space:  global
        .offset:         64
        .size:           8
        .value_kind:     global_buffer
      - .offset:         72
        .size:           8
        .value_kind:     by_value
      - .offset:         80
        .size:           4
        .value_kind:     by_value
      - .offset:         84
        .size:           4
        .value_kind:     by_value
      - .offset:         88
        .size:           8
        .value_kind:     by_value
      - .offset:         96
        .size:           8
        .value_kind:     by_value
      - .offset:         104
        .size:           8
        .value_kind:     by_value
      - .offset:         112
        .size:           8
        .value_kind:     by_value
      - .offset:         120
        .size:           1
        .value_kind:     by_value
    .group_segment_fixed_size: 2048
    .kernarg_segment_align: 8
    .kernarg_segment_size: 124
    .language:       OpenCL C
    .language_version:
      - 2
      - 0
    .max_flat_workgroup_size: 256
    .name:           _ZN9rocsparseL12csrilu0_hashILj256ELj32ELj1E21rocsparse_complex_numIfEEEviPKiS4_PT2_S4_PiS4_S7_S7_d21rocsparse_index_base_imNS_24const_host_device_scalarIfEENS9_IdEENS9_IS5_EEb
    .private_segment_fixed_size: 0
    .sgpr_count:     44
    .sgpr_spill_count: 0
    .symbol:         _ZN9rocsparseL12csrilu0_hashILj256ELj32ELj1E21rocsparse_complex_numIfEEEviPKiS4_PT2_S4_PiS4_S7_S7_d21rocsparse_index_base_imNS_24const_host_device_scalarIfEENS9_IdEENS9_IS5_EEb.kd
    .uniform_work_group_size: 1
    .uses_dynamic_stack: false
    .vgpr_count:     25
    .vgpr_spill_count: 0
    .wavefront_size: 32
  - .args:
      - .offset:         0
        .size:           4
        .value_kind:     by_value
      - .address_space:  global
        .offset:         8
        .size:           8
        .value_kind:     global_buffer
      - .address_space:  global
        .offset:         16
        .size:           8
        .value_kind:     global_buffer
      - .address_space:  global
        .offset:         24
        .size:           8
        .value_kind:     global_buffer
      - .address_space:  global
        .offset:         32
        .size:           8
        .value_kind:     global_buffer
      - .address_space:  global
        .offset:         40
        .size:           8
        .value_kind:     global_buffer
      - .address_space:  global
        .offset:         48
        .size:           8
        .value_kind:     global_buffer
      - .address_space:  global
        .offset:         56
        .size:           8
        .value_kind:     global_buffer
      - .address_space:  global
        .offset:         64
        .size:           8
        .value_kind:     global_buffer
      - .offset:         72
        .size:           8
        .value_kind:     by_value
      - .offset:         80
        .size:           4
        .value_kind:     by_value
      - .offset:         84
        .size:           4
        .value_kind:     by_value
      - .offset:         88
        .size:           8
        .value_kind:     by_value
      - .offset:         96
        .size:           8
        .value_kind:     by_value
      - .offset:         104
        .size:           8
        .value_kind:     by_value
      - .offset:         112
        .size:           8
        .value_kind:     by_value
      - .offset:         120
        .size:           1
        .value_kind:     by_value
    .group_segment_fixed_size: 4096
    .kernarg_segment_align: 8
    .kernarg_segment_size: 124
    .language:       OpenCL C
    .language_version:
      - 2
      - 0
    .max_flat_workgroup_size: 256
    .name:           _ZN9rocsparseL12csrilu0_hashILj256ELj32ELj2E21rocsparse_complex_numIfEEEviPKiS4_PT2_S4_PiS4_S7_S7_d21rocsparse_index_base_imNS_24const_host_device_scalarIfEENS9_IdEENS9_IS5_EEb
    .private_segment_fixed_size: 0
    .sgpr_count:     44
    .sgpr_spill_count: 0
    .symbol:         _ZN9rocsparseL12csrilu0_hashILj256ELj32ELj2E21rocsparse_complex_numIfEEEviPKiS4_PT2_S4_PiS4_S7_S7_d21rocsparse_index_base_imNS_24const_host_device_scalarIfEENS9_IdEENS9_IS5_EEb.kd
    .uniform_work_group_size: 1
    .uses_dynamic_stack: false
    .vgpr_count:     25
    .vgpr_spill_count: 0
    .wavefront_size: 32
  - .args:
      - .offset:         0
        .size:           4
        .value_kind:     by_value
      - .address_space:  global
        .offset:         8
        .size:           8
        .value_kind:     global_buffer
      - .address_space:  global
        .offset:         16
        .size:           8
        .value_kind:     global_buffer
      - .address_space:  global
        .offset:         24
        .size:           8
        .value_kind:     global_buffer
      - .address_space:  global
        .offset:         32
        .size:           8
        .value_kind:     global_buffer
      - .address_space:  global
        .offset:         40
        .size:           8
        .value_kind:     global_buffer
      - .address_space:  global
        .offset:         48
        .size:           8
        .value_kind:     global_buffer
      - .address_space:  global
        .offset:         56
        .size:           8
        .value_kind:     global_buffer
      - .address_space:  global
        .offset:         64
        .size:           8
        .value_kind:     global_buffer
      - .offset:         72
        .size:           8
        .value_kind:     by_value
      - .offset:         80
        .size:           4
        .value_kind:     by_value
      - .offset:         84
        .size:           4
        .value_kind:     by_value
      - .offset:         88
        .size:           8
        .value_kind:     by_value
      - .offset:         96
        .size:           8
        .value_kind:     by_value
      - .offset:         104
        .size:           8
        .value_kind:     by_value
      - .offset:         112
        .size:           8
        .value_kind:     by_value
      - .offset:         120
        .size:           1
        .value_kind:     by_value
    .group_segment_fixed_size: 8192
    .kernarg_segment_align: 8
    .kernarg_segment_size: 124
    .language:       OpenCL C
    .language_version:
      - 2
      - 0
    .max_flat_workgroup_size: 256
    .name:           _ZN9rocsparseL12csrilu0_hashILj256ELj32ELj4E21rocsparse_complex_numIfEEEviPKiS4_PT2_S4_PiS4_S7_S7_d21rocsparse_index_base_imNS_24const_host_device_scalarIfEENS9_IdEENS9_IS5_EEb
    .private_segment_fixed_size: 0
    .sgpr_count:     44
    .sgpr_spill_count: 0
    .symbol:         _ZN9rocsparseL12csrilu0_hashILj256ELj32ELj4E21rocsparse_complex_numIfEEEviPKiS4_PT2_S4_PiS4_S7_S7_d21rocsparse_index_base_imNS_24const_host_device_scalarIfEENS9_IdEENS9_IS5_EEb.kd
    .uniform_work_group_size: 1
    .uses_dynamic_stack: false
    .vgpr_count:     25
    .vgpr_spill_count: 0
    .wavefront_size: 32
  - .args:
      - .offset:         0
        .size:           4
        .value_kind:     by_value
      - .address_space:  global
        .offset:         8
        .size:           8
        .value_kind:     global_buffer
      - .address_space:  global
        .offset:         16
        .size:           8
        .value_kind:     global_buffer
      - .address_space:  global
        .offset:         24
        .size:           8
        .value_kind:     global_buffer
      - .address_space:  global
        .offset:         32
        .size:           8
        .value_kind:     global_buffer
      - .address_space:  global
        .offset:         40
        .size:           8
        .value_kind:     global_buffer
      - .address_space:  global
        .offset:         48
        .size:           8
        .value_kind:     global_buffer
      - .address_space:  global
        .offset:         56
        .size:           8
        .value_kind:     global_buffer
      - .address_space:  global
        .offset:         64
        .size:           8
        .value_kind:     global_buffer
      - .offset:         72
        .size:           8
        .value_kind:     by_value
      - .offset:         80
        .size:           4
        .value_kind:     by_value
      - .offset:         84
        .size:           4
        .value_kind:     by_value
      - .offset:         88
        .size:           8
        .value_kind:     by_value
      - .offset:         96
        .size:           8
        .value_kind:     by_value
      - .offset:         104
        .size:           8
        .value_kind:     by_value
      - .offset:         112
        .size:           8
        .value_kind:     by_value
      - .offset:         120
        .size:           1
        .value_kind:     by_value
    .group_segment_fixed_size: 16384
    .kernarg_segment_align: 8
    .kernarg_segment_size: 124
    .language:       OpenCL C
    .language_version:
      - 2
      - 0
    .max_flat_workgroup_size: 256
    .name:           _ZN9rocsparseL12csrilu0_hashILj256ELj32ELj8E21rocsparse_complex_numIfEEEviPKiS4_PT2_S4_PiS4_S7_S7_d21rocsparse_index_base_imNS_24const_host_device_scalarIfEENS9_IdEENS9_IS5_EEb
    .private_segment_fixed_size: 0
    .sgpr_count:     44
    .sgpr_spill_count: 0
    .symbol:         _ZN9rocsparseL12csrilu0_hashILj256ELj32ELj8E21rocsparse_complex_numIfEEEviPKiS4_PT2_S4_PiS4_S7_S7_d21rocsparse_index_base_imNS_24const_host_device_scalarIfEENS9_IdEENS9_IS5_EEb.kd
    .uniform_work_group_size: 1
    .uses_dynamic_stack: false
    .vgpr_count:     25
    .vgpr_spill_count: 0
    .wavefront_size: 32
  - .args:
      - .offset:         0
        .size:           4
        .value_kind:     by_value
      - .address_space:  global
        .offset:         8
        .size:           8
        .value_kind:     global_buffer
      - .address_space:  global
        .offset:         16
        .size:           8
        .value_kind:     global_buffer
      - .address_space:  global
        .offset:         24
        .size:           8
        .value_kind:     global_buffer
      - .address_space:  global
        .offset:         32
        .size:           8
        .value_kind:     global_buffer
      - .address_space:  global
        .offset:         40
        .size:           8
        .value_kind:     global_buffer
      - .address_space:  global
        .offset:         48
        .size:           8
        .value_kind:     global_buffer
      - .address_space:  global
        .offset:         56
        .size:           8
        .value_kind:     global_buffer
      - .address_space:  global
        .offset:         64
        .size:           8
        .value_kind:     global_buffer
      - .offset:         72
        .size:           8
        .value_kind:     by_value
      - .offset:         80
        .size:           4
        .value_kind:     by_value
      - .offset:         84
        .size:           4
        .value_kind:     by_value
      - .offset:         88
        .size:           8
        .value_kind:     by_value
      - .offset:         96
        .size:           8
        .value_kind:     by_value
      - .offset:         104
        .size:           8
        .value_kind:     by_value
      - .offset:         112
        .size:           8
        .value_kind:     by_value
      - .offset:         120
        .size:           1
        .value_kind:     by_value
    .group_segment_fixed_size: 32768
    .kernarg_segment_align: 8
    .kernarg_segment_size: 124
    .language:       OpenCL C
    .language_version:
      - 2
      - 0
    .max_flat_workgroup_size: 256
    .name:           _ZN9rocsparseL12csrilu0_hashILj256ELj32ELj16E21rocsparse_complex_numIfEEEviPKiS4_PT2_S4_PiS4_S7_S7_d21rocsparse_index_base_imNS_24const_host_device_scalarIfEENS9_IdEENS9_IS5_EEb
    .private_segment_fixed_size: 0
    .sgpr_count:     44
    .sgpr_spill_count: 0
    .symbol:         _ZN9rocsparseL12csrilu0_hashILj256ELj32ELj16E21rocsparse_complex_numIfEEEviPKiS4_PT2_S4_PiS4_S7_S7_d21rocsparse_index_base_imNS_24const_host_device_scalarIfEENS9_IdEENS9_IS5_EEb.kd
    .uniform_work_group_size: 1
    .uses_dynamic_stack: false
    .vgpr_count:     25
    .vgpr_spill_count: 0
    .wavefront_size: 32
  - .args:
      - .offset:         0
        .size:           4
        .value_kind:     by_value
      - .address_space:  global
        .offset:         8
        .size:           8
        .value_kind:     global_buffer
      - .address_space:  global
        .offset:         16
        .size:           8
        .value_kind:     global_buffer
      - .address_space:  global
        .offset:         24
        .size:           8
        .value_kind:     global_buffer
      - .address_space:  global
        .offset:         32
        .size:           8
        .value_kind:     global_buffer
      - .address_space:  global
        .offset:         40
        .size:           8
        .value_kind:     global_buffer
      - .address_space:  global
        .offset:         48
        .size:           8
        .value_kind:     global_buffer
      - .address_space:  global
        .offset:         56
        .size:           8
        .value_kind:     global_buffer
      - .address_space:  global
        .offset:         64
        .size:           8
        .value_kind:     global_buffer
      - .offset:         72
        .size:           8
        .value_kind:     by_value
      - .offset:         80
        .size:           4
        .value_kind:     by_value
      - .offset:         84
        .size:           4
        .value_kind:     by_value
      - .offset:         88
        .size:           8
        .value_kind:     by_value
      - .offset:         96
        .size:           8
        .value_kind:     by_value
      - .offset:         104
        .size:           8
        .value_kind:     by_value
      - .offset:         112
        .size:           8
        .value_kind:     by_value
      - .offset:         120
        .size:           1
        .value_kind:     by_value
    .group_segment_fixed_size: 0
    .kernarg_segment_align: 8
    .kernarg_segment_size: 124
    .language:       OpenCL C
    .language_version:
      - 2
      - 0
    .max_flat_workgroup_size: 256
    .name:           _ZN9rocsparseL17csrilu0_binsearchILj256ELj32ELb0E21rocsparse_complex_numIfEEEviPKiS4_PT2_S4_PiS4_S7_S7_d21rocsparse_index_base_imNS_24const_host_device_scalarIfEENS9_IdEENS9_IS5_EEb
    .private_segment_fixed_size: 0
    .sgpr_count:     32
    .sgpr_spill_count: 0
    .symbol:         _ZN9rocsparseL17csrilu0_binsearchILj256ELj32ELb0E21rocsparse_complex_numIfEEEviPKiS4_PT2_S4_PiS4_S7_S7_d21rocsparse_index_base_imNS_24const_host_device_scalarIfEENS9_IdEENS9_IS5_EEb.kd
    .uniform_work_group_size: 1
    .uses_dynamic_stack: false
    .vgpr_count:     24
    .vgpr_spill_count: 0
    .wavefront_size: 32
  - .args:
      - .offset:         0
        .size:           4
        .value_kind:     by_value
      - .address_space:  global
        .offset:         8
        .size:           8
        .value_kind:     global_buffer
      - .address_space:  global
        .offset:         16
        .size:           8
        .value_kind:     global_buffer
      - .address_space:  global
        .offset:         24
        .size:           8
        .value_kind:     global_buffer
      - .address_space:  global
        .offset:         32
        .size:           8
        .value_kind:     global_buffer
      - .address_space:  global
        .offset:         40
        .size:           8
        .value_kind:     global_buffer
      - .address_space:  global
        .offset:         48
        .size:           8
        .value_kind:     global_buffer
      - .address_space:  global
        .offset:         56
        .size:           8
        .value_kind:     global_buffer
      - .address_space:  global
        .offset:         64
        .size:           8
        .value_kind:     global_buffer
      - .offset:         72
        .size:           8
        .value_kind:     by_value
      - .offset:         80
        .size:           4
        .value_kind:     by_value
      - .offset:         84
        .size:           4
        .value_kind:     by_value
      - .offset:         88
        .size:           8
        .value_kind:     by_value
      - .offset:         96
        .size:           8
        .value_kind:     by_value
      - .offset:         104
        .size:           8
        .value_kind:     by_value
      - .offset:         112
        .size:           8
        .value_kind:     by_value
      - .offset:         120
        .size:           1
        .value_kind:     by_value
    .group_segment_fixed_size: 2048
    .kernarg_segment_align: 8
    .kernarg_segment_size: 124
    .language:       OpenCL C
    .language_version:
      - 2
      - 0
    .max_flat_workgroup_size: 256
    .name:           _ZN9rocsparseL12csrilu0_hashILj256ELj64ELj1E21rocsparse_complex_numIfEEEviPKiS4_PT2_S4_PiS4_S7_S7_d21rocsparse_index_base_imNS_24const_host_device_scalarIfEENS9_IdEENS9_IS5_EEb
    .private_segment_fixed_size: 0
    .sgpr_count:     44
    .sgpr_spill_count: 0
    .symbol:         _ZN9rocsparseL12csrilu0_hashILj256ELj64ELj1E21rocsparse_complex_numIfEEEviPKiS4_PT2_S4_PiS4_S7_S7_d21rocsparse_index_base_imNS_24const_host_device_scalarIfEENS9_IdEENS9_IS5_EEb.kd
    .uniform_work_group_size: 1
    .uses_dynamic_stack: false
    .vgpr_count:     25
    .vgpr_spill_count: 0
    .wavefront_size: 32
  - .args:
      - .offset:         0
        .size:           4
        .value_kind:     by_value
      - .address_space:  global
        .offset:         8
        .size:           8
        .value_kind:     global_buffer
      - .address_space:  global
        .offset:         16
        .size:           8
        .value_kind:     global_buffer
      - .address_space:  global
        .offset:         24
        .size:           8
        .value_kind:     global_buffer
      - .address_space:  global
        .offset:         32
        .size:           8
        .value_kind:     global_buffer
      - .address_space:  global
        .offset:         40
        .size:           8
        .value_kind:     global_buffer
      - .address_space:  global
        .offset:         48
        .size:           8
        .value_kind:     global_buffer
      - .address_space:  global
        .offset:         56
        .size:           8
        .value_kind:     global_buffer
      - .address_space:  global
        .offset:         64
        .size:           8
        .value_kind:     global_buffer
      - .offset:         72
        .size:           8
        .value_kind:     by_value
      - .offset:         80
        .size:           4
        .value_kind:     by_value
      - .offset:         84
        .size:           4
        .value_kind:     by_value
      - .offset:         88
        .size:           8
        .value_kind:     by_value
      - .offset:         96
        .size:           8
        .value_kind:     by_value
      - .offset:         104
        .size:           8
        .value_kind:     by_value
      - .offset:         112
        .size:           8
        .value_kind:     by_value
      - .offset:         120
        .size:           1
        .value_kind:     by_value
    .group_segment_fixed_size: 4096
    .kernarg_segment_align: 8
    .kernarg_segment_size: 124
    .language:       OpenCL C
    .language_version:
      - 2
      - 0
    .max_flat_workgroup_size: 256
    .name:           _ZN9rocsparseL12csrilu0_hashILj256ELj64ELj2E21rocsparse_complex_numIfEEEviPKiS4_PT2_S4_PiS4_S7_S7_d21rocsparse_index_base_imNS_24const_host_device_scalarIfEENS9_IdEENS9_IS5_EEb
    .private_segment_fixed_size: 0
    .sgpr_count:     44
    .sgpr_spill_count: 0
    .symbol:         _ZN9rocsparseL12csrilu0_hashILj256ELj64ELj2E21rocsparse_complex_numIfEEEviPKiS4_PT2_S4_PiS4_S7_S7_d21rocsparse_index_base_imNS_24const_host_device_scalarIfEENS9_IdEENS9_IS5_EEb.kd
    .uniform_work_group_size: 1
    .uses_dynamic_stack: false
    .vgpr_count:     25
    .vgpr_spill_count: 0
    .wavefront_size: 32
  - .args:
      - .offset:         0
        .size:           4
        .value_kind:     by_value
      - .address_space:  global
        .offset:         8
        .size:           8
        .value_kind:     global_buffer
      - .address_space:  global
        .offset:         16
        .size:           8
        .value_kind:     global_buffer
      - .address_space:  global
        .offset:         24
        .size:           8
        .value_kind:     global_buffer
      - .address_space:  global
        .offset:         32
        .size:           8
        .value_kind:     global_buffer
      - .address_space:  global
        .offset:         40
        .size:           8
        .value_kind:     global_buffer
      - .address_space:  global
        .offset:         48
        .size:           8
        .value_kind:     global_buffer
      - .address_space:  global
        .offset:         56
        .size:           8
        .value_kind:     global_buffer
      - .address_space:  global
        .offset:         64
        .size:           8
        .value_kind:     global_buffer
      - .offset:         72
        .size:           8
        .value_kind:     by_value
      - .offset:         80
        .size:           4
        .value_kind:     by_value
      - .offset:         84
        .size:           4
        .value_kind:     by_value
      - .offset:         88
        .size:           8
        .value_kind:     by_value
      - .offset:         96
        .size:           8
        .value_kind:     by_value
      - .offset:         104
        .size:           8
        .value_kind:     by_value
      - .offset:         112
        .size:           8
        .value_kind:     by_value
      - .offset:         120
        .size:           1
        .value_kind:     by_value
    .group_segment_fixed_size: 8192
    .kernarg_segment_align: 8
    .kernarg_segment_size: 124
    .language:       OpenCL C
    .language_version:
      - 2
      - 0
    .max_flat_workgroup_size: 256
    .name:           _ZN9rocsparseL12csrilu0_hashILj256ELj64ELj4E21rocsparse_complex_numIfEEEviPKiS4_PT2_S4_PiS4_S7_S7_d21rocsparse_index_base_imNS_24const_host_device_scalarIfEENS9_IdEENS9_IS5_EEb
    .private_segment_fixed_size: 0
    .sgpr_count:     44
    .sgpr_spill_count: 0
    .symbol:         _ZN9rocsparseL12csrilu0_hashILj256ELj64ELj4E21rocsparse_complex_numIfEEEviPKiS4_PT2_S4_PiS4_S7_S7_d21rocsparse_index_base_imNS_24const_host_device_scalarIfEENS9_IdEENS9_IS5_EEb.kd
    .uniform_work_group_size: 1
    .uses_dynamic_stack: false
    .vgpr_count:     25
    .vgpr_spill_count: 0
    .wavefront_size: 32
  - .args:
      - .offset:         0
        .size:           4
        .value_kind:     by_value
      - .address_space:  global
        .offset:         8
        .size:           8
        .value_kind:     global_buffer
      - .address_space:  global
        .offset:         16
        .size:           8
        .value_kind:     global_buffer
      - .address_space:  global
        .offset:         24
        .size:           8
        .value_kind:     global_buffer
      - .address_space:  global
        .offset:         32
        .size:           8
        .value_kind:     global_buffer
      - .address_space:  global
        .offset:         40
        .size:           8
        .value_kind:     global_buffer
      - .address_space:  global
        .offset:         48
        .size:           8
        .value_kind:     global_buffer
      - .address_space:  global
        .offset:         56
        .size:           8
        .value_kind:     global_buffer
      - .address_space:  global
        .offset:         64
        .size:           8
        .value_kind:     global_buffer
      - .offset:         72
        .size:           8
        .value_kind:     by_value
      - .offset:         80
        .size:           4
        .value_kind:     by_value
      - .offset:         84
        .size:           4
        .value_kind:     by_value
      - .offset:         88
        .size:           8
        .value_kind:     by_value
      - .offset:         96
        .size:           8
        .value_kind:     by_value
      - .offset:         104
        .size:           8
        .value_kind:     by_value
      - .offset:         112
        .size:           8
        .value_kind:     by_value
      - .offset:         120
        .size:           1
        .value_kind:     by_value
    .group_segment_fixed_size: 16384
    .kernarg_segment_align: 8
    .kernarg_segment_size: 124
    .language:       OpenCL C
    .language_version:
      - 2
      - 0
    .max_flat_workgroup_size: 256
    .name:           _ZN9rocsparseL12csrilu0_hashILj256ELj64ELj8E21rocsparse_complex_numIfEEEviPKiS4_PT2_S4_PiS4_S7_S7_d21rocsparse_index_base_imNS_24const_host_device_scalarIfEENS9_IdEENS9_IS5_EEb
    .private_segment_fixed_size: 0
    .sgpr_count:     44
    .sgpr_spill_count: 0
    .symbol:         _ZN9rocsparseL12csrilu0_hashILj256ELj64ELj8E21rocsparse_complex_numIfEEEviPKiS4_PT2_S4_PiS4_S7_S7_d21rocsparse_index_base_imNS_24const_host_device_scalarIfEENS9_IdEENS9_IS5_EEb.kd
    .uniform_work_group_size: 1
    .uses_dynamic_stack: false
    .vgpr_count:     25
    .vgpr_spill_count: 0
    .wavefront_size: 32
  - .args:
      - .offset:         0
        .size:           4
        .value_kind:     by_value
      - .address_space:  global
        .offset:         8
        .size:           8
        .value_kind:     global_buffer
      - .address_space:  global
        .offset:         16
        .size:           8
        .value_kind:     global_buffer
      - .address_space:  global
        .offset:         24
        .size:           8
        .value_kind:     global_buffer
      - .address_space:  global
        .offset:         32
        .size:           8
        .value_kind:     global_buffer
      - .address_space:  global
        .offset:         40
        .size:           8
        .value_kind:     global_buffer
      - .address_space:  global
        .offset:         48
        .size:           8
        .value_kind:     global_buffer
      - .address_space:  global
        .offset:         56
        .size:           8
        .value_kind:     global_buffer
      - .address_space:  global
        .offset:         64
        .size:           8
        .value_kind:     global_buffer
      - .offset:         72
        .size:           8
        .value_kind:     by_value
      - .offset:         80
        .size:           4
        .value_kind:     by_value
      - .offset:         84
        .size:           4
        .value_kind:     by_value
      - .offset:         88
        .size:           8
        .value_kind:     by_value
      - .offset:         96
        .size:           8
        .value_kind:     by_value
      - .offset:         104
        .size:           8
        .value_kind:     by_value
      - .offset:         112
        .size:           8
        .value_kind:     by_value
      - .offset:         120
        .size:           1
        .value_kind:     by_value
    .group_segment_fixed_size: 32768
    .kernarg_segment_align: 8
    .kernarg_segment_size: 124
    .language:       OpenCL C
    .language_version:
      - 2
      - 0
    .max_flat_workgroup_size: 256
    .name:           _ZN9rocsparseL12csrilu0_hashILj256ELj64ELj16E21rocsparse_complex_numIfEEEviPKiS4_PT2_S4_PiS4_S7_S7_d21rocsparse_index_base_imNS_24const_host_device_scalarIfEENS9_IdEENS9_IS5_EEb
    .private_segment_fixed_size: 0
    .sgpr_count:     44
    .sgpr_spill_count: 0
    .symbol:         _ZN9rocsparseL12csrilu0_hashILj256ELj64ELj16E21rocsparse_complex_numIfEEEviPKiS4_PT2_S4_PiS4_S7_S7_d21rocsparse_index_base_imNS_24const_host_device_scalarIfEENS9_IdEENS9_IS5_EEb.kd
    .uniform_work_group_size: 1
    .uses_dynamic_stack: false
    .vgpr_count:     25
    .vgpr_spill_count: 0
    .wavefront_size: 32
  - .args:
      - .offset:         0
        .size:           4
        .value_kind:     by_value
      - .address_space:  global
        .offset:         8
        .size:           8
        .value_kind:     global_buffer
      - .address_space:  global
        .offset:         16
        .size:           8
        .value_kind:     global_buffer
      - .address_space:  global
        .offset:         24
        .size:           8
        .value_kind:     global_buffer
      - .address_space:  global
        .offset:         32
        .size:           8
        .value_kind:     global_buffer
      - .address_space:  global
        .offset:         40
        .size:           8
        .value_kind:     global_buffer
      - .address_space:  global
        .offset:         48
        .size:           8
        .value_kind:     global_buffer
      - .address_space:  global
        .offset:         56
        .size:           8
        .value_kind:     global_buffer
      - .address_space:  global
        .offset:         64
        .size:           8
        .value_kind:     global_buffer
      - .offset:         72
        .size:           8
        .value_kind:     by_value
      - .offset:         80
        .size:           4
        .value_kind:     by_value
      - .offset:         84
        .size:           4
        .value_kind:     by_value
      - .offset:         88
        .size:           8
        .value_kind:     by_value
      - .offset:         96
        .size:           8
        .value_kind:     by_value
      - .offset:         104
        .size:           8
        .value_kind:     by_value
      - .offset:         112
        .size:           8
        .value_kind:     by_value
      - .offset:         120
        .size:           1
        .value_kind:     by_value
    .group_segment_fixed_size: 0
    .kernarg_segment_align: 8
    .kernarg_segment_size: 124
    .language:       OpenCL C
    .language_version:
      - 2
      - 0
    .max_flat_workgroup_size: 256
    .name:           _ZN9rocsparseL17csrilu0_binsearchILj256ELj64ELb0E21rocsparse_complex_numIfEEEviPKiS4_PT2_S4_PiS4_S7_S7_d21rocsparse_index_base_imNS_24const_host_device_scalarIfEENS9_IdEENS9_IS5_EEb
    .private_segment_fixed_size: 0
    .sgpr_count:     32
    .sgpr_spill_count: 0
    .symbol:         _ZN9rocsparseL17csrilu0_binsearchILj256ELj64ELb0E21rocsparse_complex_numIfEEEviPKiS4_PT2_S4_PiS4_S7_S7_d21rocsparse_index_base_imNS_24const_host_device_scalarIfEENS9_IdEENS9_IS5_EEb.kd
    .uniform_work_group_size: 1
    .uses_dynamic_stack: false
    .vgpr_count:     24
    .vgpr_spill_count: 0
    .wavefront_size: 32
  - .args:
      - .offset:         0
        .size:           4
        .value_kind:     by_value
      - .address_space:  global
        .offset:         8
        .size:           8
        .value_kind:     global_buffer
      - .address_space:  global
        .offset:         16
        .size:           8
        .value_kind:     global_buffer
      - .address_space:  global
        .offset:         24
        .size:           8
        .value_kind:     global_buffer
      - .address_space:  global
        .offset:         32
        .size:           8
        .value_kind:     global_buffer
      - .address_space:  global
        .offset:         40
        .size:           8
        .value_kind:     global_buffer
      - .address_space:  global
        .offset:         48
        .size:           8
        .value_kind:     global_buffer
      - .address_space:  global
        .offset:         56
        .size:           8
        .value_kind:     global_buffer
      - .address_space:  global
        .offset:         64
        .size:           8
        .value_kind:     global_buffer
      - .offset:         72
        .size:           8
        .value_kind:     by_value
      - .offset:         80
        .size:           4
        .value_kind:     by_value
      - .offset:         84
        .size:           4
        .value_kind:     by_value
      - .offset:         88
        .size:           8
        .value_kind:     by_value
      - .offset:         96
        .size:           8
        .value_kind:     by_value
      - .offset:         104
        .size:           8
        .value_kind:     by_value
      - .offset:         112
        .size:           16
        .value_kind:     by_value
      - .offset:         128
        .size:           1
        .value_kind:     by_value
    .group_segment_fixed_size: 0
    .kernarg_segment_align: 8
    .kernarg_segment_size: 132
    .language:       OpenCL C
    .language_version:
      - 2
      - 0
    .max_flat_workgroup_size: 256
    .name:           _ZN9rocsparseL17csrilu0_binsearchILj256ELj64ELb1E21rocsparse_complex_numIdEEEviPKiS4_PT2_S4_PiS4_S7_S7_d21rocsparse_index_base_imNS_24const_host_device_scalarIfEENS9_IdEENS9_IS5_EEb
    .private_segment_fixed_size: 16
    .sgpr_count:     32
    .sgpr_spill_count: 0
    .symbol:         _ZN9rocsparseL17csrilu0_binsearchILj256ELj64ELb1E21rocsparse_complex_numIdEEEviPKiS4_PT2_S4_PiS4_S7_S7_d21rocsparse_index_base_imNS_24const_host_device_scalarIfEENS9_IdEENS9_IS5_EEb.kd
    .uniform_work_group_size: 1
    .uses_dynamic_stack: false
    .vgpr_count:     38
    .vgpr_spill_count: 0
    .wavefront_size: 32
  - .args:
      - .offset:         0
        .size:           4
        .value_kind:     by_value
      - .address_space:  global
        .offset:         8
        .size:           8
        .value_kind:     global_buffer
      - .address_space:  global
        .offset:         16
        .size:           8
        .value_kind:     global_buffer
      - .address_space:  global
        .offset:         24
        .size:           8
        .value_kind:     global_buffer
      - .address_space:  global
        .offset:         32
        .size:           8
        .value_kind:     global_buffer
      - .address_space:  global
        .offset:         40
        .size:           8
        .value_kind:     global_buffer
      - .address_space:  global
        .offset:         48
        .size:           8
        .value_kind:     global_buffer
      - .address_space:  global
        .offset:         56
        .size:           8
        .value_kind:     global_buffer
      - .address_space:  global
        .offset:         64
        .size:           8
        .value_kind:     global_buffer
      - .offset:         72
        .size:           8
        .value_kind:     by_value
      - .offset:         80
        .size:           4
        .value_kind:     by_value
      - .offset:         84
        .size:           4
        .value_kind:     by_value
      - .offset:         88
        .size:           8
        .value_kind:     by_value
      - .offset:         96
        .size:           8
        .value_kind:     by_value
      - .offset:         104
        .size:           8
        .value_kind:     by_value
      - .offset:         112
        .size:           16
        .value_kind:     by_value
      - .offset:         128
        .size:           1
        .value_kind:     by_value
    .group_segment_fixed_size: 2048
    .kernarg_segment_align: 8
    .kernarg_segment_size: 132
    .language:       OpenCL C
    .language_version:
      - 2
      - 0
    .max_flat_workgroup_size: 256
    .name:           _ZN9rocsparseL12csrilu0_hashILj256ELj32ELj1E21rocsparse_complex_numIdEEEviPKiS4_PT2_S4_PiS4_S7_S7_d21rocsparse_index_base_imNS_24const_host_device_scalarIfEENS9_IdEENS9_IS5_EEb
    .private_segment_fixed_size: 16
    .sgpr_count:     42
    .sgpr_spill_count: 0
    .symbol:         _ZN9rocsparseL12csrilu0_hashILj256ELj32ELj1E21rocsparse_complex_numIdEEEviPKiS4_PT2_S4_PiS4_S7_S7_d21rocsparse_index_base_imNS_24const_host_device_scalarIfEENS9_IdEENS9_IS5_EEb.kd
    .uniform_work_group_size: 1
    .uses_dynamic_stack: false
    .vgpr_count:     38
    .vgpr_spill_count: 0
    .wavefront_size: 32
  - .args:
      - .offset:         0
        .size:           4
        .value_kind:     by_value
      - .address_space:  global
        .offset:         8
        .size:           8
        .value_kind:     global_buffer
      - .address_space:  global
        .offset:         16
        .size:           8
        .value_kind:     global_buffer
      - .address_space:  global
        .offset:         24
        .size:           8
        .value_kind:     global_buffer
      - .address_space:  global
        .offset:         32
        .size:           8
        .value_kind:     global_buffer
      - .address_space:  global
        .offset:         40
        .size:           8
        .value_kind:     global_buffer
      - .address_space:  global
        .offset:         48
        .size:           8
        .value_kind:     global_buffer
      - .address_space:  global
        .offset:         56
        .size:           8
        .value_kind:     global_buffer
      - .address_space:  global
        .offset:         64
        .size:           8
        .value_kind:     global_buffer
      - .offset:         72
        .size:           8
        .value_kind:     by_value
      - .offset:         80
        .size:           4
        .value_kind:     by_value
      - .offset:         84
        .size:           4
        .value_kind:     by_value
      - .offset:         88
        .size:           8
        .value_kind:     by_value
      - .offset:         96
        .size:           8
        .value_kind:     by_value
      - .offset:         104
        .size:           8
        .value_kind:     by_value
      - .offset:         112
        .size:           16
        .value_kind:     by_value
      - .offset:         128
        .size:           1
        .value_kind:     by_value
    .group_segment_fixed_size: 4096
    .kernarg_segment_align: 8
    .kernarg_segment_size: 132
    .language:       OpenCL C
    .language_version:
      - 2
      - 0
    .max_flat_workgroup_size: 256
    .name:           _ZN9rocsparseL12csrilu0_hashILj256ELj32ELj2E21rocsparse_complex_numIdEEEviPKiS4_PT2_S4_PiS4_S7_S7_d21rocsparse_index_base_imNS_24const_host_device_scalarIfEENS9_IdEENS9_IS5_EEb
    .private_segment_fixed_size: 16
    .sgpr_count:     42
    .sgpr_spill_count: 0
    .symbol:         _ZN9rocsparseL12csrilu0_hashILj256ELj32ELj2E21rocsparse_complex_numIdEEEviPKiS4_PT2_S4_PiS4_S7_S7_d21rocsparse_index_base_imNS_24const_host_device_scalarIfEENS9_IdEENS9_IS5_EEb.kd
    .uniform_work_group_size: 1
    .uses_dynamic_stack: false
    .vgpr_count:     38
    .vgpr_spill_count: 0
    .wavefront_size: 32
  - .args:
      - .offset:         0
        .size:           4
        .value_kind:     by_value
      - .address_space:  global
        .offset:         8
        .size:           8
        .value_kind:     global_buffer
      - .address_space:  global
        .offset:         16
        .size:           8
        .value_kind:     global_buffer
      - .address_space:  global
        .offset:         24
        .size:           8
        .value_kind:     global_buffer
      - .address_space:  global
        .offset:         32
        .size:           8
        .value_kind:     global_buffer
      - .address_space:  global
        .offset:         40
        .size:           8
        .value_kind:     global_buffer
      - .address_space:  global
        .offset:         48
        .size:           8
        .value_kind:     global_buffer
      - .address_space:  global
        .offset:         56
        .size:           8
        .value_kind:     global_buffer
      - .address_space:  global
        .offset:         64
        .size:           8
        .value_kind:     global_buffer
      - .offset:         72
        .size:           8
        .value_kind:     by_value
      - .offset:         80
        .size:           4
        .value_kind:     by_value
      - .offset:         84
        .size:           4
        .value_kind:     by_value
      - .offset:         88
        .size:           8
        .value_kind:     by_value
      - .offset:         96
        .size:           8
        .value_kind:     by_value
      - .offset:         104
        .size:           8
        .value_kind:     by_value
      - .offset:         112
        .size:           16
        .value_kind:     by_value
      - .offset:         128
        .size:           1
        .value_kind:     by_value
    .group_segment_fixed_size: 8192
    .kernarg_segment_align: 8
    .kernarg_segment_size: 132
    .language:       OpenCL C
    .language_version:
      - 2
      - 0
    .max_flat_workgroup_size: 256
    .name:           _ZN9rocsparseL12csrilu0_hashILj256ELj32ELj4E21rocsparse_complex_numIdEEEviPKiS4_PT2_S4_PiS4_S7_S7_d21rocsparse_index_base_imNS_24const_host_device_scalarIfEENS9_IdEENS9_IS5_EEb
    .private_segment_fixed_size: 16
    .sgpr_count:     42
    .sgpr_spill_count: 0
    .symbol:         _ZN9rocsparseL12csrilu0_hashILj256ELj32ELj4E21rocsparse_complex_numIdEEEviPKiS4_PT2_S4_PiS4_S7_S7_d21rocsparse_index_base_imNS_24const_host_device_scalarIfEENS9_IdEENS9_IS5_EEb.kd
    .uniform_work_group_size: 1
    .uses_dynamic_stack: false
    .vgpr_count:     38
    .vgpr_spill_count: 0
    .wavefront_size: 32
  - .args:
      - .offset:         0
        .size:           4
        .value_kind:     by_value
      - .address_space:  global
        .offset:         8
        .size:           8
        .value_kind:     global_buffer
      - .address_space:  global
        .offset:         16
        .size:           8
        .value_kind:     global_buffer
      - .address_space:  global
        .offset:         24
        .size:           8
        .value_kind:     global_buffer
      - .address_space:  global
        .offset:         32
        .size:           8
        .value_kind:     global_buffer
      - .address_space:  global
        .offset:         40
        .size:           8
        .value_kind:     global_buffer
      - .address_space:  global
        .offset:         48
        .size:           8
        .value_kind:     global_buffer
      - .address_space:  global
        .offset:         56
        .size:           8
        .value_kind:     global_buffer
      - .address_space:  global
        .offset:         64
        .size:           8
        .value_kind:     global_buffer
      - .offset:         72
        .size:           8
        .value_kind:     by_value
      - .offset:         80
        .size:           4
        .value_kind:     by_value
      - .offset:         84
        .size:           4
        .value_kind:     by_value
      - .offset:         88
        .size:           8
        .value_kind:     by_value
      - .offset:         96
        .size:           8
        .value_kind:     by_value
      - .offset:         104
        .size:           8
        .value_kind:     by_value
      - .offset:         112
        .size:           16
        .value_kind:     by_value
      - .offset:         128
        .size:           1
        .value_kind:     by_value
    .group_segment_fixed_size: 16384
    .kernarg_segment_align: 8
    .kernarg_segment_size: 132
    .language:       OpenCL C
    .language_version:
      - 2
      - 0
    .max_flat_workgroup_size: 256
    .name:           _ZN9rocsparseL12csrilu0_hashILj256ELj32ELj8E21rocsparse_complex_numIdEEEviPKiS4_PT2_S4_PiS4_S7_S7_d21rocsparse_index_base_imNS_24const_host_device_scalarIfEENS9_IdEENS9_IS5_EEb
    .private_segment_fixed_size: 16
    .sgpr_count:     42
    .sgpr_spill_count: 0
    .symbol:         _ZN9rocsparseL12csrilu0_hashILj256ELj32ELj8E21rocsparse_complex_numIdEEEviPKiS4_PT2_S4_PiS4_S7_S7_d21rocsparse_index_base_imNS_24const_host_device_scalarIfEENS9_IdEENS9_IS5_EEb.kd
    .uniform_work_group_size: 1
    .uses_dynamic_stack: false
    .vgpr_count:     38
    .vgpr_spill_count: 0
    .wavefront_size: 32
  - .args:
      - .offset:         0
        .size:           4
        .value_kind:     by_value
      - .address_space:  global
        .offset:         8
        .size:           8
        .value_kind:     global_buffer
      - .address_space:  global
        .offset:         16
        .size:           8
        .value_kind:     global_buffer
      - .address_space:  global
        .offset:         24
        .size:           8
        .value_kind:     global_buffer
      - .address_space:  global
        .offset:         32
        .size:           8
        .value_kind:     global_buffer
      - .address_space:  global
        .offset:         40
        .size:           8
        .value_kind:     global_buffer
      - .address_space:  global
        .offset:         48
        .size:           8
        .value_kind:     global_buffer
      - .address_space:  global
        .offset:         56
        .size:           8
        .value_kind:     global_buffer
      - .address_space:  global
        .offset:         64
        .size:           8
        .value_kind:     global_buffer
      - .offset:         72
        .size:           8
        .value_kind:     by_value
      - .offset:         80
        .size:           4
        .value_kind:     by_value
      - .offset:         84
        .size:           4
        .value_kind:     by_value
      - .offset:         88
        .size:           8
        .value_kind:     by_value
      - .offset:         96
        .size:           8
        .value_kind:     by_value
      - .offset:         104
        .size:           8
        .value_kind:     by_value
      - .offset:         112
        .size:           16
        .value_kind:     by_value
      - .offset:         128
        .size:           1
        .value_kind:     by_value
    .group_segment_fixed_size: 32768
    .kernarg_segment_align: 8
    .kernarg_segment_size: 132
    .language:       OpenCL C
    .language_version:
      - 2
      - 0
    .max_flat_workgroup_size: 256
    .name:           _ZN9rocsparseL12csrilu0_hashILj256ELj32ELj16E21rocsparse_complex_numIdEEEviPKiS4_PT2_S4_PiS4_S7_S7_d21rocsparse_index_base_imNS_24const_host_device_scalarIfEENS9_IdEENS9_IS5_EEb
    .private_segment_fixed_size: 16
    .sgpr_count:     42
    .sgpr_spill_count: 0
    .symbol:         _ZN9rocsparseL12csrilu0_hashILj256ELj32ELj16E21rocsparse_complex_numIdEEEviPKiS4_PT2_S4_PiS4_S7_S7_d21rocsparse_index_base_imNS_24const_host_device_scalarIfEENS9_IdEENS9_IS5_EEb.kd
    .uniform_work_group_size: 1
    .uses_dynamic_stack: false
    .vgpr_count:     38
    .vgpr_spill_count: 0
    .wavefront_size: 32
  - .args:
      - .offset:         0
        .size:           4
        .value_kind:     by_value
      - .address_space:  global
        .offset:         8
        .size:           8
        .value_kind:     global_buffer
      - .address_space:  global
        .offset:         16
        .size:           8
        .value_kind:     global_buffer
      - .address_space:  global
        .offset:         24
        .size:           8
        .value_kind:     global_buffer
      - .address_space:  global
        .offset:         32
        .size:           8
        .value_kind:     global_buffer
      - .address_space:  global
        .offset:         40
        .size:           8
        .value_kind:     global_buffer
      - .address_space:  global
        .offset:         48
        .size:           8
        .value_kind:     global_buffer
      - .address_space:  global
        .offset:         56
        .size:           8
        .value_kind:     global_buffer
      - .address_space:  global
        .offset:         64
        .size:           8
        .value_kind:     global_buffer
      - .offset:         72
        .size:           8
        .value_kind:     by_value
      - .offset:         80
        .size:           4
        .value_kind:     by_value
      - .offset:         84
        .size:           4
        .value_kind:     by_value
      - .offset:         88
        .size:           8
        .value_kind:     by_value
      - .offset:         96
        .size:           8
        .value_kind:     by_value
      - .offset:         104
        .size:           8
        .value_kind:     by_value
      - .offset:         112
        .size:           16
        .value_kind:     by_value
      - .offset:         128
        .size:           1
        .value_kind:     by_value
    .group_segment_fixed_size: 0
    .kernarg_segment_align: 8
    .kernarg_segment_size: 132
    .language:       OpenCL C
    .language_version:
      - 2
      - 0
    .max_flat_workgroup_size: 256
    .name:           _ZN9rocsparseL17csrilu0_binsearchILj256ELj32ELb0E21rocsparse_complex_numIdEEEviPKiS4_PT2_S4_PiS4_S7_S7_d21rocsparse_index_base_imNS_24const_host_device_scalarIfEENS9_IdEENS9_IS5_EEb
    .private_segment_fixed_size: 16
    .sgpr_count:     32
    .sgpr_spill_count: 0
    .symbol:         _ZN9rocsparseL17csrilu0_binsearchILj256ELj32ELb0E21rocsparse_complex_numIdEEEviPKiS4_PT2_S4_PiS4_S7_S7_d21rocsparse_index_base_imNS_24const_host_device_scalarIfEENS9_IdEENS9_IS5_EEb.kd
    .uniform_work_group_size: 1
    .uses_dynamic_stack: false
    .vgpr_count:     38
    .vgpr_spill_count: 0
    .wavefront_size: 32
  - .args:
      - .offset:         0
        .size:           4
        .value_kind:     by_value
      - .address_space:  global
        .offset:         8
        .size:           8
        .value_kind:     global_buffer
      - .address_space:  global
        .offset:         16
        .size:           8
        .value_kind:     global_buffer
      - .address_space:  global
        .offset:         24
        .size:           8
        .value_kind:     global_buffer
      - .address_space:  global
        .offset:         32
        .size:           8
        .value_kind:     global_buffer
      - .address_space:  global
        .offset:         40
        .size:           8
        .value_kind:     global_buffer
      - .address_space:  global
        .offset:         48
        .size:           8
        .value_kind:     global_buffer
      - .address_space:  global
        .offset:         56
        .size:           8
        .value_kind:     global_buffer
      - .address_space:  global
        .offset:         64
        .size:           8
        .value_kind:     global_buffer
      - .offset:         72
        .size:           8
        .value_kind:     by_value
      - .offset:         80
        .size:           4
        .value_kind:     by_value
      - .offset:         84
        .size:           4
        .value_kind:     by_value
      - .offset:         88
        .size:           8
        .value_kind:     by_value
      - .offset:         96
        .size:           8
        .value_kind:     by_value
      - .offset:         104
        .size:           8
        .value_kind:     by_value
      - .offset:         112
        .size:           16
        .value_kind:     by_value
      - .offset:         128
        .size:           1
        .value_kind:     by_value
    .group_segment_fixed_size: 2048
    .kernarg_segment_align: 8
    .kernarg_segment_size: 132
    .language:       OpenCL C
    .language_version:
      - 2
      - 0
    .max_flat_workgroup_size: 256
    .name:           _ZN9rocsparseL12csrilu0_hashILj256ELj64ELj1E21rocsparse_complex_numIdEEEviPKiS4_PT2_S4_PiS4_S7_S7_d21rocsparse_index_base_imNS_24const_host_device_scalarIfEENS9_IdEENS9_IS5_EEb
    .private_segment_fixed_size: 16
    .sgpr_count:     42
    .sgpr_spill_count: 0
    .symbol:         _ZN9rocsparseL12csrilu0_hashILj256ELj64ELj1E21rocsparse_complex_numIdEEEviPKiS4_PT2_S4_PiS4_S7_S7_d21rocsparse_index_base_imNS_24const_host_device_scalarIfEENS9_IdEENS9_IS5_EEb.kd
    .uniform_work_group_size: 1
    .uses_dynamic_stack: false
    .vgpr_count:     38
    .vgpr_spill_count: 0
    .wavefront_size: 32
  - .args:
      - .offset:         0
        .size:           4
        .value_kind:     by_value
      - .address_space:  global
        .offset:         8
        .size:           8
        .value_kind:     global_buffer
      - .address_space:  global
        .offset:         16
        .size:           8
        .value_kind:     global_buffer
      - .address_space:  global
        .offset:         24
        .size:           8
        .value_kind:     global_buffer
      - .address_space:  global
        .offset:         32
        .size:           8
        .value_kind:     global_buffer
      - .address_space:  global
        .offset:         40
        .size:           8
        .value_kind:     global_buffer
      - .address_space:  global
        .offset:         48
        .size:           8
        .value_kind:     global_buffer
      - .address_space:  global
        .offset:         56
        .size:           8
        .value_kind:     global_buffer
      - .address_space:  global
        .offset:         64
        .size:           8
        .value_kind:     global_buffer
      - .offset:         72
        .size:           8
        .value_kind:     by_value
      - .offset:         80
        .size:           4
        .value_kind:     by_value
      - .offset:         84
        .size:           4
        .value_kind:     by_value
      - .offset:         88
        .size:           8
        .value_kind:     by_value
      - .offset:         96
        .size:           8
        .value_kind:     by_value
      - .offset:         104
        .size:           8
        .value_kind:     by_value
      - .offset:         112
        .size:           16
        .value_kind:     by_value
      - .offset:         128
        .size:           1
        .value_kind:     by_value
    .group_segment_fixed_size: 4096
    .kernarg_segment_align: 8
    .kernarg_segment_size: 132
    .language:       OpenCL C
    .language_version:
      - 2
      - 0
    .max_flat_workgroup_size: 256
    .name:           _ZN9rocsparseL12csrilu0_hashILj256ELj64ELj2E21rocsparse_complex_numIdEEEviPKiS4_PT2_S4_PiS4_S7_S7_d21rocsparse_index_base_imNS_24const_host_device_scalarIfEENS9_IdEENS9_IS5_EEb
    .private_segment_fixed_size: 16
    .sgpr_count:     42
    .sgpr_spill_count: 0
    .symbol:         _ZN9rocsparseL12csrilu0_hashILj256ELj64ELj2E21rocsparse_complex_numIdEEEviPKiS4_PT2_S4_PiS4_S7_S7_d21rocsparse_index_base_imNS_24const_host_device_scalarIfEENS9_IdEENS9_IS5_EEb.kd
    .uniform_work_group_size: 1
    .uses_dynamic_stack: false
    .vgpr_count:     38
    .vgpr_spill_count: 0
    .wavefront_size: 32
  - .args:
      - .offset:         0
        .size:           4
        .value_kind:     by_value
      - .address_space:  global
        .offset:         8
        .size:           8
        .value_kind:     global_buffer
      - .address_space:  global
        .offset:         16
        .size:           8
        .value_kind:     global_buffer
      - .address_space:  global
        .offset:         24
        .size:           8
        .value_kind:     global_buffer
      - .address_space:  global
        .offset:         32
        .size:           8
        .value_kind:     global_buffer
      - .address_space:  global
        .offset:         40
        .size:           8
        .value_kind:     global_buffer
      - .address_space:  global
        .offset:         48
        .size:           8
        .value_kind:     global_buffer
      - .address_space:  global
        .offset:         56
        .size:           8
        .value_kind:     global_buffer
      - .address_space:  global
        .offset:         64
        .size:           8
        .value_kind:     global_buffer
      - .offset:         72
        .size:           8
        .value_kind:     by_value
      - .offset:         80
        .size:           4
        .value_kind:     by_value
      - .offset:         84
        .size:           4
        .value_kind:     by_value
      - .offset:         88
        .size:           8
        .value_kind:     by_value
      - .offset:         96
        .size:           8
        .value_kind:     by_value
      - .offset:         104
        .size:           8
        .value_kind:     by_value
      - .offset:         112
        .size:           16
        .value_kind:     by_value
      - .offset:         128
        .size:           1
        .value_kind:     by_value
    .group_segment_fixed_size: 8192
    .kernarg_segment_align: 8
    .kernarg_segment_size: 132
    .language:       OpenCL C
    .language_version:
      - 2
      - 0
    .max_flat_workgroup_size: 256
    .name:           _ZN9rocsparseL12csrilu0_hashILj256ELj64ELj4E21rocsparse_complex_numIdEEEviPKiS4_PT2_S4_PiS4_S7_S7_d21rocsparse_index_base_imNS_24const_host_device_scalarIfEENS9_IdEENS9_IS5_EEb
    .private_segment_fixed_size: 16
    .sgpr_count:     42
    .sgpr_spill_count: 0
    .symbol:         _ZN9rocsparseL12csrilu0_hashILj256ELj64ELj4E21rocsparse_complex_numIdEEEviPKiS4_PT2_S4_PiS4_S7_S7_d21rocsparse_index_base_imNS_24const_host_device_scalarIfEENS9_IdEENS9_IS5_EEb.kd
    .uniform_work_group_size: 1
    .uses_dynamic_stack: false
    .vgpr_count:     38
    .vgpr_spill_count: 0
    .wavefront_size: 32
  - .args:
      - .offset:         0
        .size:           4
        .value_kind:     by_value
      - .address_space:  global
        .offset:         8
        .size:           8
        .value_kind:     global_buffer
      - .address_space:  global
        .offset:         16
        .size:           8
        .value_kind:     global_buffer
      - .address_space:  global
        .offset:         24
        .size:           8
        .value_kind:     global_buffer
      - .address_space:  global
        .offset:         32
        .size:           8
        .value_kind:     global_buffer
      - .address_space:  global
        .offset:         40
        .size:           8
        .value_kind:     global_buffer
      - .address_space:  global
        .offset:         48
        .size:           8
        .value_kind:     global_buffer
      - .address_space:  global
        .offset:         56
        .size:           8
        .value_kind:     global_buffer
      - .address_space:  global
        .offset:         64
        .size:           8
        .value_kind:     global_buffer
      - .offset:         72
        .size:           8
        .value_kind:     by_value
      - .offset:         80
        .size:           4
        .value_kind:     by_value
      - .offset:         84
        .size:           4
        .value_kind:     by_value
      - .offset:         88
        .size:           8
        .value_kind:     by_value
      - .offset:         96
        .size:           8
        .value_kind:     by_value
      - .offset:         104
        .size:           8
        .value_kind:     by_value
      - .offset:         112
        .size:           16
        .value_kind:     by_value
      - .offset:         128
        .size:           1
        .value_kind:     by_value
    .group_segment_fixed_size: 16384
    .kernarg_segment_align: 8
    .kernarg_segment_size: 132
    .language:       OpenCL C
    .language_version:
      - 2
      - 0
    .max_flat_workgroup_size: 256
    .name:           _ZN9rocsparseL12csrilu0_hashILj256ELj64ELj8E21rocsparse_complex_numIdEEEviPKiS4_PT2_S4_PiS4_S7_S7_d21rocsparse_index_base_imNS_24const_host_device_scalarIfEENS9_IdEENS9_IS5_EEb
    .private_segment_fixed_size: 16
    .sgpr_count:     42
    .sgpr_spill_count: 0
    .symbol:         _ZN9rocsparseL12csrilu0_hashILj256ELj64ELj8E21rocsparse_complex_numIdEEEviPKiS4_PT2_S4_PiS4_S7_S7_d21rocsparse_index_base_imNS_24const_host_device_scalarIfEENS9_IdEENS9_IS5_EEb.kd
    .uniform_work_group_size: 1
    .uses_dynamic_stack: false
    .vgpr_count:     38
    .vgpr_spill_count: 0
    .wavefront_size: 32
  - .args:
      - .offset:         0
        .size:           4
        .value_kind:     by_value
      - .address_space:  global
        .offset:         8
        .size:           8
        .value_kind:     global_buffer
      - .address_space:  global
        .offset:         16
        .size:           8
        .value_kind:     global_buffer
      - .address_space:  global
        .offset:         24
        .size:           8
        .value_kind:     global_buffer
      - .address_space:  global
        .offset:         32
        .size:           8
        .value_kind:     global_buffer
      - .address_space:  global
        .offset:         40
        .size:           8
        .value_kind:     global_buffer
      - .address_space:  global
        .offset:         48
        .size:           8
        .value_kind:     global_buffer
      - .address_space:  global
        .offset:         56
        .size:           8
        .value_kind:     global_buffer
      - .address_space:  global
        .offset:         64
        .size:           8
        .value_kind:     global_buffer
      - .offset:         72
        .size:           8
        .value_kind:     by_value
      - .offset:         80
        .size:           4
        .value_kind:     by_value
      - .offset:         84
        .size:           4
        .value_kind:     by_value
      - .offset:         88
        .size:           8
        .value_kind:     by_value
      - .offset:         96
        .size:           8
        .value_kind:     by_value
      - .offset:         104
        .size:           8
        .value_kind:     by_value
      - .offset:         112
        .size:           16
        .value_kind:     by_value
      - .offset:         128
        .size:           1
        .value_kind:     by_value
    .group_segment_fixed_size: 32768
    .kernarg_segment_align: 8
    .kernarg_segment_size: 132
    .language:       OpenCL C
    .language_version:
      - 2
      - 0
    .max_flat_workgroup_size: 256
    .name:           _ZN9rocsparseL12csrilu0_hashILj256ELj64ELj16E21rocsparse_complex_numIdEEEviPKiS4_PT2_S4_PiS4_S7_S7_d21rocsparse_index_base_imNS_24const_host_device_scalarIfEENS9_IdEENS9_IS5_EEb
    .private_segment_fixed_size: 16
    .sgpr_count:     42
    .sgpr_spill_count: 0
    .symbol:         _ZN9rocsparseL12csrilu0_hashILj256ELj64ELj16E21rocsparse_complex_numIdEEEviPKiS4_PT2_S4_PiS4_S7_S7_d21rocsparse_index_base_imNS_24const_host_device_scalarIfEENS9_IdEENS9_IS5_EEb.kd
    .uniform_work_group_size: 1
    .uses_dynamic_stack: false
    .vgpr_count:     38
    .vgpr_spill_count: 0
    .wavefront_size: 32
  - .args:
      - .offset:         0
        .size:           4
        .value_kind:     by_value
      - .address_space:  global
        .offset:         8
        .size:           8
        .value_kind:     global_buffer
      - .address_space:  global
        .offset:         16
        .size:           8
        .value_kind:     global_buffer
      - .address_space:  global
        .offset:         24
        .size:           8
        .value_kind:     global_buffer
      - .address_space:  global
        .offset:         32
        .size:           8
        .value_kind:     global_buffer
      - .address_space:  global
        .offset:         40
        .size:           8
        .value_kind:     global_buffer
      - .address_space:  global
        .offset:         48
        .size:           8
        .value_kind:     global_buffer
      - .address_space:  global
        .offset:         56
        .size:           8
        .value_kind:     global_buffer
      - .address_space:  global
        .offset:         64
        .size:           8
        .value_kind:     global_buffer
      - .offset:         72
        .size:           8
        .value_kind:     by_value
      - .offset:         80
        .size:           4
        .value_kind:     by_value
      - .offset:         84
        .size:           4
        .value_kind:     by_value
      - .offset:         88
        .size:           8
        .value_kind:     by_value
      - .offset:         96
        .size:           8
        .value_kind:     by_value
      - .offset:         104
        .size:           8
        .value_kind:     by_value
      - .offset:         112
        .size:           16
        .value_kind:     by_value
      - .offset:         128
        .size:           1
        .value_kind:     by_value
    .group_segment_fixed_size: 0
    .kernarg_segment_align: 8
    .kernarg_segment_size: 132
    .language:       OpenCL C
    .language_version:
      - 2
      - 0
    .max_flat_workgroup_size: 256
    .name:           _ZN9rocsparseL17csrilu0_binsearchILj256ELj64ELb0E21rocsparse_complex_numIdEEEviPKiS4_PT2_S4_PiS4_S7_S7_d21rocsparse_index_base_imNS_24const_host_device_scalarIfEENS9_IdEENS9_IS5_EEb
    .private_segment_fixed_size: 16
    .sgpr_count:     32
    .sgpr_spill_count: 0
    .symbol:         _ZN9rocsparseL17csrilu0_binsearchILj256ELj64ELb0E21rocsparse_complex_numIdEEEviPKiS4_PT2_S4_PiS4_S7_S7_d21rocsparse_index_base_imNS_24const_host_device_scalarIfEENS9_IdEENS9_IS5_EEb.kd
    .uniform_work_group_size: 1
    .uses_dynamic_stack: false
    .vgpr_count:     38
    .vgpr_spill_count: 0
    .wavefront_size: 32
amdhsa.target:   amdgcn-amd-amdhsa--gfx1250
amdhsa.version:
  - 1
  - 2
...

	.end_amdgpu_metadata
